;; amdgpu-corpus repo=ROCm/aiter kind=harvested arch=n/a opt=n/a

/root/src/amdgpu-assembly/repos/ROCm__aiter/hsa/gfx942/fmoe_2stages/fmoe_stage1_bf16_pertokenFp8_doweight_g1u1_16x64_5tg_pf3.co:	file format elf64-amdgpu

Disassembly of section .text:

0000000000002a00 <_ZN5aiter56fmoe_stage1_bf16_pertokenFp8_doweight_g1u1_16x64_5tg_pf3E>:
	s_and_b32 s1, s1, 0xffff                                   // 000000002A00: 8601FF01 0000FFFF
	s_load_dwordx2 s[8:9], s[0:1], 0x0                         // 000000002A08: C0060200 00000000
	s_load_dwordx2 s[20:21], s[0:1], 0x10                      // 000000002A10: C0060500 00000010
	s_load_dwordx2 s[24:25], s[0:1], 0x20                      // 000000002A18: C0060600 00000020
	s_load_dwordx2 s[48:49], s[0:1], 0x30                      // 000000002A20: C0060C00 00000030
	s_load_dwordx2 s[28:29], s[0:1], 0x40                      // 000000002A28: C0060700 00000040
	s_load_dwordx2 s[32:33], s[0:1], 0x50                      // 000000002A30: C0060800 00000050
	s_load_dwordx2 s[36:37], s[0:1], 0x60                      // 000000002A38: C0060900 00000060
	s_load_dwordx2 s[12:13], s[0:1], 0x70                      // 000000002A40: C0060300 00000070
	s_load_dwordx2 s[44:45], s[0:1], 0x80                      // 000000002A48: C0060B00 00000080
	s_mov_b32 s89, 0                                           // 000000002A50: BED90080
	s_load_dword s64, s[0:1], 0x90                             // 000000002A54: C0021000 00000090
	s_load_dword s65, s[0:1], 0xa0                             // 000000002A5C: C0021040 000000A0
	s_load_dword s66, s[0:1], 0xb0                             // 000000002A64: C0021080 000000B0
	s_load_dword s67, s[0:1], 0xc0                             // 000000002A6C: C00210C0 000000C0
	s_load_dword s68, s[0:1], 0xd0                             // 000000002A74: C0021100 000000D0
	s_load_dword s69, s[0:1], 0xe0                             // 000000002A7C: C0021140 000000E0
	s_load_dword s71, s[0:1], 0xf0                             // 000000002A84: C00211C0 000000F0
	s_load_dword s72, s[0:1], 0x100                            // 000000002A8C: C0021200 00000100
	s_load_dword s74, s[0:1], 0x110                            // 000000002A94: C0021280 00000110
	s_load_dword s76, s[0:1], 0x120                            // 000000002A9C: C0021300 00000120
	s_load_dword s56, s[0:1], 0x130                            // 000000002AA4: C0020E00 00000130
	s_load_dword s88, s[0:1], 0x140                            // 000000002AAC: C0021600 00000140
	s_load_dword s89, s[0:1], 0x150                            // 000000002AB4: C0021640 00000150
	s_load_dwordx2 s[40:41], s[0:1], 0x160                     // 000000002ABC: C0060A00 00000160
	v_lshrrev_b32_e32 v1, 10, v0                               // 000000002AC4: 2002008A
	v_lshrrev_b32_e32 v2, 10, v1                               // 000000002AC8: 2004028A
	v_and_b32_e32 v2, 0x3ff, v2                                // 000000002ACC: 260404FF 000003FF
	v_and_b32_e32 v1, 0x3ff, v1                                // 000000002AD4: 260202FF 000003FF
	v_and_b32_e32 v0, 0x3ff, v0                                // 000000002ADC: 260000FF 000003FF
	v_lshrrev_b32_e32 v3, 6, v0                                // 000000002AE4: 20060086
	v_and_b32_e32 v0, 63, v0                                   // 000000002AE8: 260000BF
	s_mov_b32 s2, s2                                           // 000000002AEC: BE820002
	s_mov_b32 s3, s3                                           // 000000002AF0: BE830003
	s_mov_b32 s4, s4                                           // 000000002AF4: BE840004
	v_readfirstlane_b32 s7, v3                                 // 000000002AF8: 7E0E0503
	s_waitcnt lgkmcnt(0)                                       // 000000002AFC: BF8CC07F
	s_and_b32 s49, s49, 0xffff                                 // 000000002B00: 8631FF31 0000FFFF
	s_load_dword s48, s[48:49], 0x0                            // 000000002B08: C0020C18 00000000
	s_and_b32 s45, s45, 0xffff                                 // 000000002B10: 862DFF2D 0000FFFF
	s_and_b32 s9, s9, 0xffff                                   // 000000002B18: 8609FF09 0000FFFF
	s_mul_i32 s60, s66, s68                                    // 000000002B20: 923C4442
	s_mul_i32 s61, s66, 4                                      // 000000002B24: 923D8442
	s_mov_b32 s22, s60                                         // 000000002B28: BE96003C
	s_mov_b32 s26, -16                                         // 000000002B2C: BE9A00D0
	s_mov_b32 s30, s61                                         // 000000002B30: BE9E003D
	s_mov_b32 s14, 64                                          // 000000002B34: BE8E00C0
	s_mov_b32 s38, -16                                         // 000000002B38: BEA600D0
	s_mov_b32 s10, -16                                         // 000000002B3C: BE8A00D0
	s_mov_b32 s34, 0x100                                       // 000000002B40: BEA200FF 00000100
	s_mov_b32 s23, 0x20000                                     // 000000002B48: BE9700FF 00020000
	s_mov_b32 s27, 0x20000                                     // 000000002B50: BE9B00FF 00020000
	s_mov_b32 s31, 0x20000                                     // 000000002B58: BE9F00FF 00020000
	s_mov_b32 s35, 0x20000                                     // 000000002B60: BEA300FF 00020000
	s_mov_b32 s15, 0x20000                                     // 000000002B68: BE8F00FF 00020000
	s_mov_b32 s39, 0x20000                                     // 000000002B70: BEA700FF 00020000
	s_mov_b32 s11, 0x20000                                     // 000000002B78: BE8B00FF 00020000
	s_and_b32 s21, s21, 0xffff                                 // 000000002B80: 8615FF15 0000FFFF
	s_and_b32 s25, s25, 0xffff                                 // 000000002B88: 8619FF19 0000FFFF
	s_and_b32 s29, s29, 0xffff                                 // 000000002B90: 861DFF1D 0000FFFF
	s_and_b32 s33, s33, 0xffff                                 // 000000002B98: 8621FF21 0000FFFF
	s_and_b32 s13, s13, 0xffff                                 // 000000002BA0: 860DFF0D 0000FFFF
	s_and_b32 s37, s37, 0xffff                                 // 000000002BA8: 8625FF25 0000FFFF
	s_or_b32 s21, s21, 0x40000                                 // 000000002BB0: 8715FF15 00040000
	s_or_b32 s25, s25, 0x40000                                 // 000000002BB8: 8719FF19 00040000
	s_or_b32 s29, s29, 0x40000                                 // 000000002BC0: 871DFF1D 00040000
	s_or_b32 s33, s33, 0x40000                                 // 000000002BC8: 8721FF21 00040000
	s_or_b32 s13, s13, 0x40000                                 // 000000002BD0: 870DFF0D 00040000
	s_or_b32 s37, s37, 0x40000                                 // 000000002BD8: 8725FF25 00040000
	s_mov_b32 s42, -16                                         // 000000002BE0: BEAA00D0
	s_mov_b32 s43, 0x20000                                     // 000000002BE4: BEAB00FF 00020000
	s_and_b32 s41, s41, 0xffff                                 // 000000002BEC: 8629FF29 0000FFFF
	s_or_b32 s41, s41, 0x40000                                 // 000000002BF4: 8729FF29 00040000
	v_accvgpr_write_b32 a39, 0                                 // 000000002BFC: D3D94027 18000080
	v_mov_b32_e32 v48, 0                                       // 000000002C04: 7E600280
	s_waitcnt lgkmcnt(0)                                       // 000000002C08: BF8CC07F
	s_mul_i32 s60, s3, 16                                      // 000000002C0C: 923C9003
	s_cmp_lt_i32 s60, s48                                      // 000000002C10: BF04303C
	s_cbranch_scc0 label_0837                                  // 000000002C14: BF8407AE
	s_mov_b32 s80, 0                                           // 000000002C18: BED00080
	s_lshr_b32 s81, s64, s88                                   // 000000002C1C: 8F515840
	s_mul_i32 s60, s3, 4                                       // 000000002C20: 923C8403
	s_add_u32 s44, s60, s44                                    // 000000002C24: 802C2C3C
	s_addc_u32 s45, 0, s45                                     // 000000002C28: 822D2D80
	s_load_dword s5, s[44:45], 0x0                             // 000000002C2C: C0020156 00000000
	s_mul_i32 s60, s3, 16                                      // 000000002C34: 923C9003
	s_mul_i32 s60, 4, s60                                      // 000000002C38: 923C3C84
	s_add_u32 s12, s60, s12                                    // 000000002C3C: 800C0C3C
	s_addc_u32 s13, 0, s13                                     // 000000002C40: 820D0D80
	v_and_b32_e32 v4, 15, v0                                   // 000000002C44: 2608008F
	v_lshlrev_b32_e32 v4, 2, v4                                // 000000002C48: 24080882
	buffer_load_dword v30, v4, s[12:15], 0 offen               // 000000002C4C: E0501000 80031E04
	v_add_u32_e32 v4, 64, v4                                   // 000000002C54: 680808C0
	s_mul_i32 s60, 4, s7                                       // 000000002C58: 923C0784
	v_lshlrev_b32_e32 v4, 4, v0                                // 000000002C5C: 24080084
	v_add_u32_e32 v4, s60, v4                                  // 000000002C60: 6808083C
	buffer_load_dword v3, v4, s[12:15], 0 offen                // 000000002C64: E0501000 80030304
	v_mov_b32_e32 v40, 0                                       // 000000002C6C: 7E500280
	v_mov_b32_e32 v44, 0                                       // 000000002C70: 7E580280
	v_mov_b32_e32 v41, 0                                       // 000000002C74: 7E520280
	v_mov_b32_e32 v45, 0                                       // 000000002C78: 7E5A0280
	v_mov_b32_e32 v42, 0                                       // 000000002C7C: 7E540280
	v_mov_b32_e32 v46, 0                                       // 000000002C80: 7E5C0280
	v_mov_b32_e32 v43, 0                                       // 000000002C84: 7E560280
	v_mov_b32_e32 v47, 0                                       // 000000002C88: 7E5E0280
	s_mul_i32 s60, s2, 0x80                                    // 000000002C8C: 923CFF02 00000080
	s_cmp_eq_u32 s88, 0                                        // 000000002C94: BF068058
	s_cselect_b32 s61, 1, 2                                    // 000000002C98: 853D8281
	s_mul_i32 s60, s60, s61                                    // 000000002C9C: 923C3D3C
	s_mov_b32 s90, s8                                          // 000000002CA0: BEDA0008
	s_mov_b32 s91, s9                                          // 000000002CA4: BEDB0009
	s_add_u32 s8, s60, s8                                      // 000000002CA8: 8008083C
	s_addc_u32 s9, 0, s9                                       // 000000002CAC: 82090980
	v_lshrrev_b32_e32 v4, 4, v0                                // 000000002CB0: 20080084
	v_mul_lo_u32 v20, 34, v4                                   // 000000002CB4: D2850014 000208A2
	v_and_b32_e32 v4, 15, v0                                   // 000000002CBC: 2608008F
	v_mul_lo_u32 v5, 2, v4                                     // 000000002CC0: D2850005 00020882
	v_add_u32_e32 v20, v5, v20                                 // 000000002CC8: 68282905
	s_mul_i32 s60, s7, 0x88                                    // 000000002CCC: 923CFF07 00000088
	v_add_u32_e32 v20, s60, v20                                // 000000002CD4: 6828283C
	v_lshlrev_b32_e32 v20, 2, v20                              // 000000002CD8: 24282882
	v_and_b32_e32 v4, 31, v0                                   // 000000002CDC: 2608009F
	v_lshrrev_b32_e32 v4, 1, v4                                // 000000002CE0: 20080881
	v_mul_lo_u32 v21, 34, v4                                   // 000000002CE4: D2850015 000208A2
	v_lshrrev_b32_e32 v4, 5, v0                                // 000000002CEC: 20080085
	v_mul_lo_u32 v4, 8, v4                                     // 000000002CF0: D2850004 00020888
	v_add_u32_e32 v21, v21, v4                                 // 000000002CF8: 682A0915
	v_and_b32_e32 v5, 1, v0                                    // 000000002CFC: 260A0081
	v_add_u32_e32 v21, v5, v21                                 // 000000002D00: 682A2B05
	s_mul_i32 s60, s7, 2                                       // 000000002D04: 923C8207
	v_add_u32_e32 v21, s60, v21                                // 000000002D08: 682A2A3C
	v_lshlrev_b32_e32 v21, 2, v21                              // 000000002D0C: 242A2A82
	s_mul_i32 s60, s7, 0x220                                   // 000000002D10: 923CFF07 00000220
	s_add_u32 s48, 0, s60                                      // 000000002D18: 80303C80
	s_add_u32 s49, 0x880, s48                                  // 000000002D1C: 803130FF 00000880
	s_add_u32 s50, 0x880, s49                                  // 000000002D24: 803231FF 00000880
	v_lshrrev_b32_e32 v4, 4, v0                                // 000000002D2C: 20080084
	v_lshlrev_b32_e32 v5, 2, v4                                // 000000002D30: 240A0882
	v_and_b32_e32 v4, 15, v0                                   // 000000002D34: 2608008F
	v_lshrrev_b32_e32 v6, 2, v4                                // 000000002D38: 200C0882
	v_lshlrev_b32_e32 v6, 5, v6                                // 000000002D3C: 240C0C85
	v_add_u32_e32 v5, v6, v5                                   // 000000002D40: 680A0B06
	v_and_b32_e32 v4, 3, v0                                    // 000000002D44: 26080083
	v_mul_u32_u24_e32 v6, 0x88, v4                             // 000000002D48: 100C08FF 00000088
	v_add_u32_e32 v5, v6, v5                                   // 000000002D50: 680A0B06
	v_lshlrev_b32_e32 v2, 2, v5                                // 000000002D54: 24040A82
	s_waitcnt lgkmcnt(0)                                       // 000000002D58: BF8CC07F
	s_mul_i32 s60, s2, 64                                      // 000000002D5C: 923CC002
	s_mul_i32 s60, s60, s69                                    // 000000002D60: 923C453C
	s_mul_i32 s61, s5, s72                                     // 000000002D64: 923D4805
	s_add_u32 s60, s61, s60                                    // 000000002D68: 803C3C3D
	s_add_u32 s24, s60, s24                                    // 000000002D6C: 8018183C
	s_addc_u32 s25, 0, s25                                     // 000000002D70: 82191980
	s_lshr_b32 s60, s64, s88                                   // 000000002D74: 8F3C5840
	s_mul_i32 s60, s4, s60                                     // 000000002D78: 923C3C04
	s_lshr_b32 s60, s60, 7                                     // 000000002D7C: 8F3C873C
	s_mul_i32 s60, s60, 0x800                                  // 000000002D80: 923CFF3C 00000800
	s_add_u32 s24, s60, s24                                    // 000000002D88: 8018183C
	s_addc_u32 s25, 0, s25                                     // 000000002D8C: 82191980
	s_lshr_b32 s60, s69, s88                                   // 000000002D90: 8F3C5845
	s_mul_i32 s60, s4, s60                                     // 000000002D94: 923C3C04
	s_add_u32 s20, s60, s20                                    // 000000002D98: 8014143C
	s_addc_u32 s21, 0, s21                                     // 000000002D9C: 82151580
	s_mul_i32 s60, s7, 16                                      // 000000002DA0: 923C9007
	s_mul_i32 s60, s60, s69                                    // 000000002DA4: 923C453C
	v_lshlrev_b32_e32 v36, 4, v0                               // 000000002DA8: 24480084
	v_add_u32_e32 v36, s60, v36                                // 000000002DAC: 6848483C
	s_mul_i32 s60, 64, s69                                     // 000000002DB0: 923C45C0
	s_mov_b32 s84, s24                                         // 000000002DB4: BED40018
	s_mov_b32 s85, s25                                         // 000000002DB8: BED50019
	s_mov_b32 s86, s26                                         // 000000002DBC: BED6001A
	s_mov_b32 s87, s27                                         // 000000002DC0: BED7001B
	s_mul_i32 s60, s69, s65                                    // 000000002DC4: 923C4145
	s_add_u32 s84, s60, s84                                    // 000000002DC8: 8054543C
	s_addc_u32 s85, 0, s85                                     // 000000002DCC: 82555580
	v_lshrrev_b32_e32 v4, 4, v0                                // 000000002DD0: 20080084
	v_lshlrev_b32_e32 v5, 2, v4                                // 000000002DD4: 240A0882
	v_and_b32_e32 v4, 15, v0                                   // 000000002DD8: 2608008F
	v_lshrrev_b32_e32 v6, 2, v4                                // 000000002DDC: 200C0882
	v_lshlrev_b32_e32 v6, 6, v6                                // 000000002DE0: 240C0C86
	v_add_u32_e32 v5, v6, v5                                   // 000000002DE4: 680A0B06
	v_and_b32_e32 v4, 3, v0                                    // 000000002DE8: 26080083
	v_add_u32_e32 v5, v4, v5                                   // 000000002DEC: 680A0B04
	v_lshlrev_b32_e32 v22, 2, v5                               // 000000002DF0: 242C0A82
	s_mul_i32 s60, s7, 16                                      // 000000002DF4: 923C9007
	s_mul_i32 s60, s60, 4                                      // 000000002DF8: 923C843C
	v_add_u32_e32 v22, s60, v22                                // 000000002DFC: 682C2C3C
	s_mul_i32 s60, s2, 64                                      // 000000002E00: 923CC002
	s_mul_i32 s60, s60, 4                                      // 000000002E04: 923C843C
	s_mul_i32 s61, s5, s74                                     // 000000002E08: 923D4A05
	s_add_u32 s61, s61, s60                                    // 000000002E0C: 803D3C3D
	s_add_u32 s32, s61, s32                                    // 000000002E10: 8020203D
	s_addc_u32 s33, 0, s33                                     // 000000002E14: 82212180
	s_mov_b32 s57, 0x80                                        // 000000002E18: BEB900FF 00000080
	s_mov_b32 s58, 0x800                                       // 000000002E20: BEBA00FF 00000800
	s_mov_b32 s83, s58                                         // 000000002E28: BED3003A
	s_mov_b32 s52, 0x7060302                                   // 000000002E2C: BEB400FF 07060302
	s_mov_b32 s53, 0x400                                       // 000000002E34: BEB500FF 00000400
	s_mov_b32 s54, 0x40100                                     // 000000002E3C: BEB600FF 00040100
	s_mov_b32 s55, 0x4020100                                   // 000000002E44: BEB700FF 04020100
	s_mov_b32 s6, 0x3fb8aa3b                                   // 000000002E4C: BE8600FF 3FB8AA3B
	s_mov_b32 s78, 0xbd92220c                                  // 000000002E54: BECE00FF BD92220C
	s_mov_b32 s79, 0xbd92220c                                  // 000000002E5C: BECF00FF BD92220C
	s_mov_b32 m0, s48                                          // 000000002E64: BEFC0030
	v_mov_b32_e32 v1, 0xbfcc4231                               // 000000002E68: 7E0202FF BFCC4231
	v_mov_b32_e32 v17, 0xffff0000                              // 000000002E70: 7E2202FF FFFF0000
	v_mov_b32_e32 v18, 0x7fff0000                              // 000000002E78: 7E2402FF 7FFF0000
	v_mov_b32_e32 v19, 0x7fff                                  // 000000002E80: 7E2602FF 00007FFF
	s_waitcnt vmcnt(0) expcnt(0) lgkmcnt(0)                    // 000000002E88: BF8C0000
	s_mul_i32 s60, s3, 16                                      // 000000002E8C: 923C9003
	s_mul_i32 s60, 4, s60                                      // 000000002E90: 923C3C84
	s_add_u32 s40, s60, s40                                    // 000000002E94: 8028283C
	s_addc_u32 s41, 0, s41                                     // 000000002E98: 82292980
	v_and_b32_e32 v4, 15, v0                                   // 000000002E9C: 2608008F
	v_lshlrev_b32_e32 v4, 2, v4                                // 000000002EA0: 24080882
	buffer_load_dword v48, v4, s[40:43], 0 offen               // 000000002EA4: E0501000 800A3004
	v_lshrrev_b32_e32 v4, 5, v0                                // 000000002EAC: 20080085
	v_xor_b32_e32 v5, 1, v4                                    // 000000002EB0: 2A0A0881
	v_readlane_b32 s82, v3, 0                                  // 000000002EB4: D2890052 00010103
	s_and_b32 s82, s82, 0xffffff                               // 000000002EBC: 8652FF52 00FFFFFF
	v_mul_lo_u32 v6, v5, s82                                   // 000000002EC4: D2850006 0000A505
	v_readlane_b32 s82, v3, 1                                  // 000000002ECC: D2890052 00010303
	s_and_b32 s82, s82, 0xffffff                               // 000000002ED4: 8652FF52 00FFFFFF
	v_mul_lo_u32 v7, v4, s82                                   // 000000002EDC: D2850007 0000A504
	v_add_u32_e32 v34, v6, v7                                  // 000000002EE4: 68440F06
	v_mul_lo_u32 v34, v34, s68                                 // 000000002EE8: D2850022 00008922
	v_readlane_b32 s82, v3, 2                                  // 000000002EF0: D2890052 00010503
	s_and_b32 s82, s82, 0xffffff                               // 000000002EF8: 8652FF52 00FFFFFF
	v_mul_lo_u32 v6, v5, s82                                   // 000000002F00: D2850006 0000A505
	v_readlane_b32 s82, v3, 3                                  // 000000002F08: D2890052 00010703
	s_and_b32 s82, s82, 0xffffff                               // 000000002F10: 8652FF52 00FFFFFF
	v_mul_lo_u32 v7, v4, s82                                   // 000000002F18: D2850007 0000A504
	v_add_u32_e32 v35, v6, v7                                  // 000000002F20: 68460F06
	v_mul_lo_u32 v35, v35, s68                                 // 000000002F24: D2850023 00008923
	v_and_b32_e32 v4, 31, v0                                   // 000000002F2C: 2608009F
	v_lshlrev_b32_e32 v4, 2, v4                                // 000000002F30: 24080882
	v_add_u32_e32 v34, v34, v4                                 // 000000002F34: 68440922
	v_add_u32_e32 v35, v35, v4                                 // 000000002F38: 68460923
	v_and_b32_e32 v30, 0xffffff, v30                           // 000000002F3C: 263C3CFF 00FFFFFF
	v_lshlrev_b32_e32 v30, 2, v30                              // 000000002F44: 243C3C82
	s_lshl_b32 s3, s66, 2                                      // 000000002F48: 8E038242
	buffer_load_dword v31, v30, s[28:31], 0 offen              // 000000002F4C: E0501000 80071F1E
	buffer_load_dword v24, v22, s[32:35], 0 offen              // 000000002F54: E0501000 80081816
	s_mul_i32 s60, 4, s65                                      // 000000002F5C: 923C4184
	s_add_u32 s32, s60, s32                                    // 000000002F60: 8020203C
	s_addc_u32 s33, 0, s33                                     // 000000002F64: 82212180
	buffer_load_dword v27, v22, s[32:35], 0 offen              // 000000002F68: E0501000 80081B16
	buffer_load_dword v34, s[20:23], 0 offen lds               // 000000002F70: E0511000 80050022
	s_add_u32 m0, 0x100, s48                                   // 000000002F78: 807C30FF 00000100
	buffer_load_dword v35, s[20:23], 0 offen lds               // 000000002F80: E0511000 80050023
	s_add_u32 m0, 0, s49                                       // 000000002F88: 807C3180
	s_add_u32 s20, s57, s20                                    // 000000002F8C: 80141439
	s_addc_u32 s21, 0, s21                                     // 000000002F90: 82151580
	buffer_load_dwordx4 a[16:19], v36, s[24:27], 0 offen       // 000000002F94: E05C1000 80861024
	buffer_load_dwordx4 a[20:23], v36, s[24:27], 0 offen offset:1024// 000000002F9C: E05C1400 80861424
	s_add_u32 s24, s58, s24                                    // 000000002FA4: 8018183A
	s_addc_u32 s25, 0, s25                                     // 000000002FA8: 82191980
	buffer_load_dword v34, s[20:23], 0 offen lds               // 000000002FAC: E0511000 80050022
	s_add_u32 m0, 0x100, s49                                   // 000000002FB4: 807C31FF 00000100
	buffer_load_dword v35, s[20:23], 0 offen lds               // 000000002FBC: E0511000 80050023
	s_add_u32 m0, 0, s50                                       // 000000002FC4: 807C3280
	s_add_u32 s20, s57, s20                                    // 000000002FC8: 80141439
	s_addc_u32 s21, 0, s21                                     // 000000002FCC: 82151580
	buffer_load_dwordx4 a[24:27], v36, s[84:87], 0 offen       // 000000002FD0: E05C1000 80951824
	buffer_load_dwordx4 a[28:31], v36, s[84:87], 0 offen offset:1024// 000000002FD8: E05C1400 80951C24
	s_add_u32 s84, s83, s84                                    // 000000002FE0: 80545453
	s_addc_u32 s85, 0, s85                                     // 000000002FE4: 82555580
	s_waitcnt vmcnt(6)                                         // 000000002FE8: BF8C0F76
	s_barrier                                                  // 000000002FEC: BF8A0000
	ds_read_b128 a[0:3], v2                                    // 000000002FF0: DBFE0000 00000002
	ds_read_b128 a[4:7], v2 offset:64                          // 000000002FF8: DBFE0040 04000002
	s_cmp_lt_i32 s7, 2                                         // 000000003000: BF048207
	s_cbranch_scc0 label_04DE                                  // 000000003004: BF840359

0000000000003008 <label_0182>:
	s_waitcnt vmcnt(4) lgkmcnt(0)                              // 000000003008: BF8C0074
	v_mfma_f32_16x16x32_fp8_fp8 v[40:43], a[16:17], a[0:1], v[40:43]// 00000000300C: D3F30028 1CA20110
	v_mfma_f32_16x16x32_fp8_fp8 v[40:43], a[18:19], a[2:3], v[40:43]// 000000003014: D3F30028 1CA20512
	buffer_load_dwordx4 a[32:35], v36, s[24:27], 0 offen       // 00000000301C: E05C1000 80862024
	v_mfma_f32_16x16x32_fp8_fp8 v[40:43], a[20:21], a[4:5], v[40:43]// 000000003024: D3F30028 1CA20914
	v_mfma_f32_16x16x32_fp8_fp8 v[40:43], a[22:23], a[6:7], v[40:43]// 00000000302C: D3F30028 1CA20D16
	buffer_load_dwordx4 a[36:39], v36, s[24:27], 0 offen offset:1024// 000000003034: E05C1400 80862424
	buffer_load_dword v34, s[20:23], 0 offen lds               // 00000000303C: E0511000 80050022
	s_add_u32 m0, 0x100, s50                                   // 000000003044: 807C32FF 00000100
	buffer_load_dword v35, s[20:23], 0 offen lds               // 00000000304C: E0511000 80050023
	s_add_u32 m0, 0, s48                                       // 000000003054: 807C3080
	s_waitcnt vmcnt(4)                                         // 000000003058: BF8C0F74
	s_barrier                                                  // 00000000305C: BF8A0000
	v_mfma_f32_16x16x32_fp8_fp8 v[44:47], a[24:25], a[0:1], v[44:47]// 000000003060: D3F3002C 1CB20118
	v_mfma_f32_16x16x32_fp8_fp8 v[44:47], a[26:27], a[2:3], v[44:47]// 000000003068: D3F3002C 1CB2051A
	buffer_load_dwordx4 a[16:19], v36, s[84:87], 0 offen       // 000000003070: E05C1000 80951024
	v_mfma_f32_16x16x32_fp8_fp8 v[44:47], a[28:29], a[4:5], v[44:47]// 000000003078: D3F3002C 1CB2091C
	v_mfma_f32_16x16x32_fp8_fp8 v[44:47], a[30:31], a[6:7], v[44:47]// 000000003080: D3F3002C 1CB20D1E
	ds_read_b128 a[8:11], v2 offset:2176                       // 000000003088: DBFE0880 08000002
	ds_read_b128 a[12:15], v2 offset:2240                      // 000000003090: DBFE08C0 0C000002
	buffer_load_dwordx4 a[20:23], v36, s[84:87], 0 offen offset:1024// 000000003098: E05C1400 80951424
	s_add_u32 s60, 0x180, s80                                  // 0000000030A0: 803C50FF 00000180
	s_cmp_lt_u32 s60, s81                                      // 0000000030A8: BF0A513C
	s_cselect_b32 s57, s57, 0                                  // 0000000030AC: 85398039
	s_add_u32 s60, 0x100, s80                                  // 0000000030B0: 803C50FF 00000100
	s_cmp_lt_u32 s60, s81                                      // 0000000030B8: BF0A513C
	s_cselect_b32 s58, s58, 0                                  // 0000000030BC: 853A803A
	s_add_u32 s60, 0x100, s80                                  // 0000000030C0: 803C50FF 00000100
	s_cmp_lt_u32 s60, s81                                      // 0000000030C8: BF0A513C
	s_cselect_b32 s83, s83, 0                                  // 0000000030CC: 85538053
	s_add_u32 s20, s57, s20                                    // 0000000030D0: 80141439
	s_addc_u32 s21, 0, s21                                     // 0000000030D4: 82151580
	s_add_u32 s84, s83, s84                                    // 0000000030D8: 80545453
	s_addc_u32 s85, 0, s85                                     // 0000000030DC: 82555580
	s_add_u32 s24, s58, s24                                    // 0000000030E0: 8018183A
	s_addc_u32 s25, 0, s25                                     // 0000000030E4: 82191980
	s_addk_i32 s80, 0x80                                       // 0000000030E8: B7500080
	s_cmp_lt_i32 s80, s81                                      // 0000000030EC: BF045150
	s_cbranch_scc0 label_02E5                                  // 0000000030F0: BF840128
	s_waitcnt vmcnt(4) lgkmcnt(0)                              // 0000000030F4: BF8C0074
	v_mfma_f32_16x16x32_fp8_fp8 v[40:43], a[32:33], a[8:9], v[40:43]// 0000000030F8: D3F30028 1CA21120
	v_mfma_f32_16x16x32_fp8_fp8 v[40:43], a[34:35], a[10:11], v[40:43]// 000000003100: D3F30028 1CA21522
	buffer_load_dwordx4 a[24:27], v36, s[24:27], 0 offen       // 000000003108: E05C1000 80861824
	v_mfma_f32_16x16x32_fp8_fp8 v[40:43], a[36:37], a[12:13], v[40:43]// 000000003110: D3F30028 1CA21924
	v_mfma_f32_16x16x32_fp8_fp8 v[40:43], a[38:39], a[14:15], v[40:43]// 000000003118: D3F30028 1CA21D26
	buffer_load_dwordx4 a[28:31], v36, s[24:27], 0 offen offset:1024// 000000003120: E05C1400 80861C24
	buffer_load_dword v34, s[20:23], 0 offen lds               // 000000003128: E0511000 80050022
	s_add_u32 m0, 0x100, s48                                   // 000000003130: 807C30FF 00000100
	buffer_load_dword v35, s[20:23], 0 offen lds               // 000000003138: E0511000 80050023
	s_add_u32 m0, 0, s49                                       // 000000003140: 807C3180
	s_waitcnt vmcnt(4)                                         // 000000003144: BF8C0F74
	s_barrier                                                  // 000000003148: BF8A0000
	v_mfma_f32_16x16x32_fp8_fp8 v[44:47], a[16:17], a[8:9], v[44:47]// 00000000314C: D3F3002C 1CB21110
	v_mfma_f32_16x16x32_fp8_fp8 v[44:47], a[18:19], a[10:11], v[44:47]// 000000003154: D3F3002C 1CB21512
	buffer_load_dwordx4 a[32:35], v36, s[84:87], 0 offen       // 00000000315C: E05C1000 80952024
	v_mfma_f32_16x16x32_fp8_fp8 v[44:47], a[20:21], a[12:13], v[44:47]// 000000003164: D3F3002C 1CB21914
	v_mfma_f32_16x16x32_fp8_fp8 v[44:47], a[22:23], a[14:15], v[44:47]// 00000000316C: D3F3002C 1CB21D16
	ds_read_b128 a[0:3], v2 offset:4352                        // 000000003174: DBFE1100 00000002
	ds_read_b128 a[4:7], v2 offset:4416                        // 00000000317C: DBFE1140 04000002
	buffer_load_dwordx4 a[36:39], v36, s[84:87], 0 offen offset:1024// 000000003184: E05C1400 80952424
	s_add_u32 s60, 0x180, s80                                  // 00000000318C: 803C50FF 00000180
	s_cmp_lt_u32 s60, s81                                      // 000000003194: BF0A513C
	s_cselect_b32 s57, s57, 0                                  // 000000003198: 85398039
	s_add_u32 s60, 0x100, s80                                  // 00000000319C: 803C50FF 00000100
	s_cmp_lt_u32 s60, s81                                      // 0000000031A4: BF0A513C
	s_cselect_b32 s58, s58, 0                                  // 0000000031A8: 853A803A
	s_add_u32 s60, 0x100, s80                                  // 0000000031AC: 803C50FF 00000100
	s_cmp_lt_u32 s60, s81                                      // 0000000031B4: BF0A513C
	s_cselect_b32 s83, s83, 0                                  // 0000000031B8: 85538053
	s_add_u32 s20, s57, s20                                    // 0000000031BC: 80141439
	s_addc_u32 s21, 0, s21                                     // 0000000031C0: 82151580
	s_add_u32 s84, s83, s84                                    // 0000000031C4: 80545453
	s_addc_u32 s85, 0, s85                                     // 0000000031C8: 82555580
	s_add_u32 s24, s58, s24                                    // 0000000031CC: 8018183A
	s_addc_u32 s25, 0, s25                                     // 0000000031D0: 82191980
	s_addk_i32 s80, 0x80                                       // 0000000031D4: B7500080
	s_cmp_lt_i32 s80, s81                                      // 0000000031D8: BF045150
	s_cbranch_scc0 label_02E5                                  // 0000000031DC: BF8400ED
	s_waitcnt vmcnt(4) lgkmcnt(0)                              // 0000000031E0: BF8C0074
	v_mfma_f32_16x16x32_fp8_fp8 v[40:43], a[24:25], a[0:1], v[40:43]// 0000000031E4: D3F30028 1CA20118
	v_mfma_f32_16x16x32_fp8_fp8 v[40:43], a[26:27], a[2:3], v[40:43]// 0000000031EC: D3F30028 1CA2051A
	buffer_load_dwordx4 a[16:19], v36, s[24:27], 0 offen       // 0000000031F4: E05C1000 80861024
	v_mfma_f32_16x16x32_fp8_fp8 v[40:43], a[28:29], a[4:5], v[40:43]// 0000000031FC: D3F30028 1CA2091C
	v_mfma_f32_16x16x32_fp8_fp8 v[40:43], a[30:31], a[6:7], v[40:43]// 000000003204: D3F30028 1CA20D1E
	buffer_load_dwordx4 a[20:23], v36, s[24:27], 0 offen offset:1024// 00000000320C: E05C1400 80861424
	buffer_load_dword v34, s[20:23], 0 offen lds               // 000000003214: E0511000 80050022
	s_add_u32 m0, 0x100, s49                                   // 00000000321C: 807C31FF 00000100
	buffer_load_dword v35, s[20:23], 0 offen lds               // 000000003224: E0511000 80050023
	s_add_u32 m0, 0, s50                                       // 00000000322C: 807C3280
	s_waitcnt vmcnt(4)                                         // 000000003230: BF8C0F74
	s_barrier                                                  // 000000003234: BF8A0000
	v_mfma_f32_16x16x32_fp8_fp8 v[44:47], a[32:33], a[0:1], v[44:47]// 000000003238: D3F3002C 1CB20120
	v_mfma_f32_16x16x32_fp8_fp8 v[44:47], a[34:35], a[2:3], v[44:47]// 000000003240: D3F3002C 1CB20522
	buffer_load_dwordx4 a[24:27], v36, s[84:87], 0 offen       // 000000003248: E05C1000 80951824
	v_mfma_f32_16x16x32_fp8_fp8 v[44:47], a[36:37], a[4:5], v[44:47]// 000000003250: D3F3002C 1CB20924
	v_mfma_f32_16x16x32_fp8_fp8 v[44:47], a[38:39], a[6:7], v[44:47]// 000000003258: D3F3002C 1CB20D26
	ds_read_b128 a[8:11], v2                                   // 000000003260: DBFE0000 08000002
	ds_read_b128 a[12:15], v2 offset:64                        // 000000003268: DBFE0040 0C000002
	buffer_load_dwordx4 a[28:31], v36, s[84:87], 0 offen offset:1024// 000000003270: E05C1400 80951C24
	s_add_u32 s60, 0x180, s80                                  // 000000003278: 803C50FF 00000180
	s_cmp_lt_u32 s60, s81                                      // 000000003280: BF0A513C
	s_cselect_b32 s57, s57, 0                                  // 000000003284: 85398039
	s_add_u32 s60, 0x100, s80                                  // 000000003288: 803C50FF 00000100
	s_cmp_lt_u32 s60, s81                                      // 000000003290: BF0A513C
	s_cselect_b32 s58, s58, 0                                  // 000000003294: 853A803A
	s_add_u32 s60, 0x100, s80                                  // 000000003298: 803C50FF 00000100
	s_cmp_lt_u32 s60, s81                                      // 0000000032A0: BF0A513C
	s_cselect_b32 s83, s83, 0                                  // 0000000032A4: 85538053
	s_add_u32 s20, s57, s20                                    // 0000000032A8: 80141439
	s_addc_u32 s21, 0, s21                                     // 0000000032AC: 82151580
	s_add_u32 s84, s83, s84                                    // 0000000032B0: 80545453
	s_addc_u32 s85, 0, s85                                     // 0000000032B4: 82555580
	s_add_u32 s24, s58, s24                                    // 0000000032B8: 8018183A
	s_addc_u32 s25, 0, s25                                     // 0000000032BC: 82191980
	s_addk_i32 s80, 0x80                                       // 0000000032C0: B7500080
	s_cmp_lt_i32 s80, s81                                      // 0000000032C4: BF045150
	s_cbranch_scc0 label_02E5                                  // 0000000032C8: BF8400B2
	s_waitcnt vmcnt(4) lgkmcnt(0)                              // 0000000032CC: BF8C0074
	v_mfma_f32_16x16x32_fp8_fp8 v[40:43], a[16:17], a[8:9], v[40:43]// 0000000032D0: D3F30028 1CA21110
	v_mfma_f32_16x16x32_fp8_fp8 v[40:43], a[18:19], a[10:11], v[40:43]// 0000000032D8: D3F30028 1CA21512
	buffer_load_dwordx4 a[32:35], v36, s[24:27], 0 offen       // 0000000032E0: E05C1000 80862024
	v_mfma_f32_16x16x32_fp8_fp8 v[40:43], a[20:21], a[12:13], v[40:43]// 0000000032E8: D3F30028 1CA21914
	v_mfma_f32_16x16x32_fp8_fp8 v[40:43], a[22:23], a[14:15], v[40:43]// 0000000032F0: D3F30028 1CA21D16
	buffer_load_dwordx4 a[36:39], v36, s[24:27], 0 offen offset:1024// 0000000032F8: E05C1400 80862424
	buffer_load_dword v34, s[20:23], 0 offen lds               // 000000003300: E0511000 80050022
	s_add_u32 m0, 0x100, s50                                   // 000000003308: 807C32FF 00000100
	buffer_load_dword v35, s[20:23], 0 offen lds               // 000000003310: E0511000 80050023
	s_add_u32 m0, 0, s48                                       // 000000003318: 807C3080
	s_waitcnt vmcnt(4)                                         // 00000000331C: BF8C0F74
	s_barrier                                                  // 000000003320: BF8A0000
	v_mfma_f32_16x16x32_fp8_fp8 v[44:47], a[24:25], a[8:9], v[44:47]// 000000003324: D3F3002C 1CB21118
	v_mfma_f32_16x16x32_fp8_fp8 v[44:47], a[26:27], a[10:11], v[44:47]// 00000000332C: D3F3002C 1CB2151A
	buffer_load_dwordx4 a[16:19], v36, s[84:87], 0 offen       // 000000003334: E05C1000 80951024
	v_mfma_f32_16x16x32_fp8_fp8 v[44:47], a[28:29], a[12:13], v[44:47]// 00000000333C: D3F3002C 1CB2191C
	v_mfma_f32_16x16x32_fp8_fp8 v[44:47], a[30:31], a[14:15], v[44:47]// 000000003344: D3F3002C 1CB21D1E
	ds_read_b128 a[0:3], v2 offset:2176                        // 00000000334C: DBFE0880 00000002
	ds_read_b128 a[4:7], v2 offset:2240                        // 000000003354: DBFE08C0 04000002
	buffer_load_dwordx4 a[20:23], v36, s[84:87], 0 offen offset:1024// 00000000335C: E05C1400 80951424
	s_add_u32 s60, 0x180, s80                                  // 000000003364: 803C50FF 00000180
	s_cmp_lt_u32 s60, s81                                      // 00000000336C: BF0A513C
	s_cselect_b32 s57, s57, 0                                  // 000000003370: 85398039
	s_add_u32 s60, 0x100, s80                                  // 000000003374: 803C50FF 00000100
	s_cmp_lt_u32 s60, s81                                      // 00000000337C: BF0A513C
	s_cselect_b32 s58, s58, 0                                  // 000000003380: 853A803A
	s_add_u32 s60, 0x100, s80                                  // 000000003384: 803C50FF 00000100
	s_cmp_lt_u32 s60, s81                                      // 00000000338C: BF0A513C
	s_cselect_b32 s83, s83, 0                                  // 000000003390: 85538053
	s_add_u32 s20, s57, s20                                    // 000000003394: 80141439
	s_addc_u32 s21, 0, s21                                     // 000000003398: 82151580
	s_add_u32 s84, s83, s84                                    // 00000000339C: 80545453
	s_addc_u32 s85, 0, s85                                     // 0000000033A0: 82555580
	s_add_u32 s24, s58, s24                                    // 0000000033A4: 8018183A
	s_addc_u32 s25, 0, s25                                     // 0000000033A8: 82191980
	s_addk_i32 s80, 0x80                                       // 0000000033AC: B7500080
	s_cmp_lt_i32 s80, s81                                      // 0000000033B0: BF045150
	s_cbranch_scc0 label_02E5                                  // 0000000033B4: BF840077
	s_waitcnt vmcnt(4) lgkmcnt(0)                              // 0000000033B8: BF8C0074
	v_mfma_f32_16x16x32_fp8_fp8 v[40:43], a[32:33], a[0:1], v[40:43]// 0000000033BC: D3F30028 1CA20120
	v_mfma_f32_16x16x32_fp8_fp8 v[40:43], a[34:35], a[2:3], v[40:43]// 0000000033C4: D3F30028 1CA20522
	buffer_load_dwordx4 a[24:27], v36, s[24:27], 0 offen       // 0000000033CC: E05C1000 80861824
	v_mfma_f32_16x16x32_fp8_fp8 v[40:43], a[36:37], a[4:5], v[40:43]// 0000000033D4: D3F30028 1CA20924
	v_mfma_f32_16x16x32_fp8_fp8 v[40:43], a[38:39], a[6:7], v[40:43]// 0000000033DC: D3F30028 1CA20D26
	buffer_load_dwordx4 a[28:31], v36, s[24:27], 0 offen offset:1024// 0000000033E4: E05C1400 80861C24
	buffer_load_dword v34, s[20:23], 0 offen lds               // 0000000033EC: E0511000 80050022
	s_add_u32 m0, 0x100, s48                                   // 0000000033F4: 807C30FF 00000100
	buffer_load_dword v35, s[20:23], 0 offen lds               // 0000000033FC: E0511000 80050023
	s_add_u32 m0, 0, s49                                       // 000000003404: 807C3180
	s_waitcnt vmcnt(4)                                         // 000000003408: BF8C0F74
	s_barrier                                                  // 00000000340C: BF8A0000
	v_mfma_f32_16x16x32_fp8_fp8 v[44:47], a[16:17], a[0:1], v[44:47]// 000000003410: D3F3002C 1CB20110
	v_mfma_f32_16x16x32_fp8_fp8 v[44:47], a[18:19], a[2:3], v[44:47]// 000000003418: D3F3002C 1CB20512
	buffer_load_dwordx4 a[32:35], v36, s[84:87], 0 offen       // 000000003420: E05C1000 80952024
	v_mfma_f32_16x16x32_fp8_fp8 v[44:47], a[20:21], a[4:5], v[44:47]// 000000003428: D3F3002C 1CB20914
	v_mfma_f32_16x16x32_fp8_fp8 v[44:47], a[22:23], a[6:7], v[44:47]// 000000003430: D3F3002C 1CB20D16
	ds_read_b128 a[8:11], v2 offset:4352                       // 000000003438: DBFE1100 08000002
	ds_read_b128 a[12:15], v2 offset:4416                      // 000000003440: DBFE1140 0C000002
	buffer_load_dwordx4 a[36:39], v36, s[84:87], 0 offen offset:1024// 000000003448: E05C1400 80952424
	s_add_u32 s60, 0x180, s80                                  // 000000003450: 803C50FF 00000180
	s_cmp_lt_u32 s60, s81                                      // 000000003458: BF0A513C
	s_cselect_b32 s57, s57, 0                                  // 00000000345C: 85398039
	s_add_u32 s60, 0x100, s80                                  // 000000003460: 803C50FF 00000100
	s_cmp_lt_u32 s60, s81                                      // 000000003468: BF0A513C
	s_cselect_b32 s58, s58, 0                                  // 00000000346C: 853A803A
	s_add_u32 s60, 0x100, s80                                  // 000000003470: 803C50FF 00000100
	s_cmp_lt_u32 s60, s81                                      // 000000003478: BF0A513C
	s_cselect_b32 s83, s83, 0                                  // 00000000347C: 85538053
	s_add_u32 s20, s57, s20                                    // 000000003480: 80141439
	s_addc_u32 s21, 0, s21                                     // 000000003484: 82151580
	s_add_u32 s84, s83, s84                                    // 000000003488: 80545453
	s_addc_u32 s85, 0, s85                                     // 00000000348C: 82555580
	s_add_u32 s24, s58, s24                                    // 000000003490: 8018183A
	s_addc_u32 s25, 0, s25                                     // 000000003494: 82191980
	s_addk_i32 s80, 0x80                                       // 000000003498: B7500080
	s_cmp_lt_i32 s80, s81                                      // 00000000349C: BF045150
	s_cbranch_scc0 label_02E5                                  // 0000000034A0: BF84003C
	s_waitcnt vmcnt(4) lgkmcnt(0)                              // 0000000034A4: BF8C0074
	v_mfma_f32_16x16x32_fp8_fp8 v[40:43], a[24:25], a[8:9], v[40:43]// 0000000034A8: D3F30028 1CA21118
	v_mfma_f32_16x16x32_fp8_fp8 v[40:43], a[26:27], a[10:11], v[40:43]// 0000000034B0: D3F30028 1CA2151A
	buffer_load_dwordx4 a[16:19], v36, s[24:27], 0 offen       // 0000000034B8: E05C1000 80861024
	v_mfma_f32_16x16x32_fp8_fp8 v[40:43], a[28:29], a[12:13], v[40:43]// 0000000034C0: D3F30028 1CA2191C
	v_mfma_f32_16x16x32_fp8_fp8 v[40:43], a[30:31], a[14:15], v[40:43]// 0000000034C8: D3F30028 1CA21D1E
	buffer_load_dwordx4 a[20:23], v36, s[24:27], 0 offen offset:1024// 0000000034D0: E05C1400 80861424
	buffer_load_dword v34, s[20:23], 0 offen lds               // 0000000034D8: E0511000 80050022
	s_add_u32 m0, 0x100, s49                                   // 0000000034E0: 807C31FF 00000100
	buffer_load_dword v35, s[20:23], 0 offen lds               // 0000000034E8: E0511000 80050023
	s_add_u32 m0, 0, s50                                       // 0000000034F0: 807C3280
	s_waitcnt vmcnt(4)                                         // 0000000034F4: BF8C0F74
	s_barrier                                                  // 0000000034F8: BF8A0000
	v_mfma_f32_16x16x32_fp8_fp8 v[44:47], a[32:33], a[8:9], v[44:47]// 0000000034FC: D3F3002C 1CB21120
	v_mfma_f32_16x16x32_fp8_fp8 v[44:47], a[34:35], a[10:11], v[44:47]// 000000003504: D3F3002C 1CB21522
	buffer_load_dwordx4 a[24:27], v36, s[84:87], 0 offen       // 00000000350C: E05C1000 80951824
	v_mfma_f32_16x16x32_fp8_fp8 v[44:47], a[36:37], a[12:13], v[44:47]// 000000003514: D3F3002C 1CB21924
	v_mfma_f32_16x16x32_fp8_fp8 v[44:47], a[38:39], a[14:15], v[44:47]// 00000000351C: D3F3002C 1CB21D26
	ds_read_b128 a[0:3], v2                                    // 000000003524: DBFE0000 00000002
	ds_read_b128 a[4:7], v2 offset:64                          // 00000000352C: DBFE0040 04000002
	buffer_load_dwordx4 a[28:31], v36, s[84:87], 0 offen offset:1024// 000000003534: E05C1400 80951C24
	s_add_u32 s60, 0x180, s80                                  // 00000000353C: 803C50FF 00000180
	s_cmp_lt_u32 s60, s81                                      // 000000003544: BF0A513C
	s_cselect_b32 s57, s57, 0                                  // 000000003548: 85398039
	s_add_u32 s60, 0x100, s80                                  // 00000000354C: 803C50FF 00000100
	s_cmp_lt_u32 s60, s81                                      // 000000003554: BF0A513C
	s_cselect_b32 s58, s58, 0                                  // 000000003558: 853A803A
	s_add_u32 s60, 0x100, s80                                  // 00000000355C: 803C50FF 00000100
	s_cmp_lt_u32 s60, s81                                      // 000000003564: BF0A513C
	s_cselect_b32 s83, s83, 0                                  // 000000003568: 85538053
	s_add_u32 s20, s57, s20                                    // 00000000356C: 80141439
	s_addc_u32 s21, 0, s21                                     // 000000003570: 82151580
	s_add_u32 s84, s83, s84                                    // 000000003574: 80545453
	s_addc_u32 s85, 0, s85                                     // 000000003578: 82555580
	s_add_u32 s24, s58, s24                                    // 00000000357C: 8018183A
	s_addc_u32 s25, 0, s25                                     // 000000003580: 82191980
	s_addk_i32 s80, 0x80                                       // 000000003584: B7500080
	s_cmp_lt_i32 s80, s81                                      // 000000003588: BF045150
	s_cbranch_scc0 label_02E5                                  // 00000000358C: BF840001
	s_branch label_0182                                        // 000000003590: BF82FE9D

0000000000003594 <label_02E5>:
	v_mul_f32_dpp v40, v24, v40 row_newbcast:0 row_mask:0xf bank_mask:0xf// 000000003594: 0A5050FA FF015018
	v_mul_f32_dpp v41, v24, v41 row_newbcast:1 row_mask:0xf bank_mask:0xf// 00000000359C: 0A5252FA FF015118
	v_mul_f32_dpp v42, v24, v42 row_newbcast:2 row_mask:0xf bank_mask:0xf// 0000000035A4: 0A5454FA FF015218
	v_mul_f32_dpp v43, v24, v43 row_newbcast:3 row_mask:0xf bank_mask:0xf// 0000000035AC: 0A5656FA FF015318
	v_mul_f32_dpp v44, v27, v44 row_newbcast:0 row_mask:0xf bank_mask:0xf// 0000000035B4: 0A5858FA FF01501B
	v_mul_f32_dpp v45, v27, v45 row_newbcast:1 row_mask:0xf bank_mask:0xf// 0000000035BC: 0A5A5AFA FF01511B
	v_mul_f32_dpp v46, v27, v46 row_newbcast:2 row_mask:0xf bank_mask:0xf// 0000000035C4: 0A5C5CFA FF01521B
	v_mul_f32_dpp v47, v27, v47 row_newbcast:3 row_mask:0xf bank_mask:0xf// 0000000035CC: 0A5E5EFA FF01531B
	v_mul_f32_e32 v31, v31, v48                                // 0000000035D4: 0A3E611F
	v_mov_b32_e32 v4, v31                                      // 0000000035D8: 7E08031F
	v_mov_b32_e32 v5, v4                                       // 0000000035DC: 7E0A0304
	v_pk_mul_f32 v[40:41], v[4:5], v[40:41]                    // 0000000035E0: D3B14028 18025104
	v_pk_mul_f32 v[44:45], v[4:5], v[44:45]                    // 0000000035E8: D3B1402C 18025904
	v_pk_mul_f32 v[42:43], v[4:5], v[42:43]                    // 0000000035F0: D3B1402A 18025504
	v_pk_mul_f32 v[46:47], v[4:5], v[46:47]                    // 0000000035F8: D3B1402E 18025D04
	s_cmp_eq_u32 s88, 0                                        // 000000003600: BF068058
	s_cbranch_scc0 label_03DD                                  // 000000003604: BF8400DB
	s_cmp_eq_u32 s89, 0                                        // 000000003608: BF068059
	s_cbranch_scc1 label_0331                                  // 00000000360C: BF85002D
	v_mov_b32_e32 v8, v1                                       // 000000003610: 7E100301
	v_mov_b32_e32 v9, v1                                       // 000000003614: 7E120301
	s_mov_b32 s60, s6                                          // 000000003618: BEBC0006
	s_mov_b32 s61, s6                                          // 00000000361C: BEBD0006
	v_pk_mul_f32 v[4:5], v[40:41], v[40:41]                    // 000000003620: D3B14004 18025128
	v_pk_mul_f32 v[6:7], v[42:43], v[42:43]                    // 000000003628: D3B14006 1802552A
	v_pk_fma_f32 v[4:5], v[4:5], s[78:79], v[8:9]              // 000000003630: D3B04004 1C209D04
	v_pk_fma_f32 v[6:7], v[6:7], s[78:79], v[8:9]              // 000000003638: D3B04006 1C209D06
	v_pk_mul_f32 v[4:5], v[4:5], v[40:41]                      // 000000003640: D3B14004 18025104
	v_pk_mul_f32 v[6:7], v[6:7], v[42:43]                      // 000000003648: D3B14006 18025506
	v_pk_mul_f32 v[4:5], v[4:5], s[60:61]                      // 000000003650: D3B14004 18007904
	v_pk_mul_f32 v[6:7], v[6:7], s[60:61]                      // 000000003658: D3B14006 18007906
	v_exp_f32_e32 v4, v4                                       // 000000003660: 7E084104
	v_exp_f32_e32 v5, v5                                       // 000000003664: 7E0A4105
	v_exp_f32_e32 v6, v6                                       // 000000003668: 7E0C4106
	v_exp_f32_e32 v7, v7                                       // 00000000366C: 7E0E4107
	v_add_f32_e64 v4, v4, 1.0                                  // 000000003670: D1010004 0001E504
	v_add_f32_e64 v5, v5, 1.0                                  // 000000003678: D1010005 0001E505
	v_add_f32_e64 v6, v6, 1.0                                  // 000000003680: D1010006 0001E506
	v_add_f32_e64 v7, v7, 1.0                                  // 000000003688: D1010007 0001E507
	v_rcp_f32_e32 v4, v4                                       // 000000003690: 7E084504
	v_rcp_f32_e32 v5, v5                                       // 000000003694: 7E0A4505
	v_rcp_f32_e32 v6, v6                                       // 000000003698: 7E0C4506
	v_rcp_f32_e32 v7, v7                                       // 00000000369C: 7E0E4507
	v_mul_f32_e32 v40, v40, v4                                 // 0000000036A0: 0A500928
	v_mul_f32_e32 v41, v41, v5                                 // 0000000036A4: 0A520B29
	v_mul_f32_e32 v42, v42, v6                                 // 0000000036A8: 0A540D2A
	v_mul_f32_e32 v43, v43, v7                                 // 0000000036AC: 0A560F2B
	v_mul_f32_e32 v40, v40, v44                                // 0000000036B0: 0A505928
	v_mul_f32_e32 v41, v41, v45                                // 0000000036B4: 0A525B29
	v_mul_f32_e32 v42, v42, v46                                // 0000000036B8: 0A545D2A
	v_mul_f32_e32 v43, v43, v47                                // 0000000036BC: 0A565F2B
	s_branch label_0351                                        // 0000000036C0: BF820020

00000000000036c4 <label_0331>:
	v_mul_f32_e64 v4, -v40, s6                                 // 0000000036C4: D1050004 20000D28
	v_mul_f32_e64 v5, -v41, s6                                 // 0000000036CC: D1050005 20000D29
	v_mul_f32_e64 v6, -v42, s6                                 // 0000000036D4: D1050006 20000D2A
	v_mul_f32_e64 v7, -v43, s6                                 // 0000000036DC: D1050007 20000D2B
	v_exp_f32_e32 v4, v4                                       // 0000000036E4: 7E084104
	v_exp_f32_e32 v5, v5                                       // 0000000036E8: 7E0A4105
	v_exp_f32_e32 v6, v6                                       // 0000000036EC: 7E0C4106
	v_exp_f32_e32 v7, v7                                       // 0000000036F0: 7E0E4107
	v_add_f32_e64 v4, v4, 1.0                                  // 0000000036F4: D1010004 0001E504
	v_add_f32_e64 v5, v5, 1.0                                  // 0000000036FC: D1010005 0001E505
	v_add_f32_e64 v6, v6, 1.0                                  // 000000003704: D1010006 0001E506
	v_add_f32_e64 v7, v7, 1.0                                  // 00000000370C: D1010007 0001E507
	v_rcp_f32_e32 v4, v4                                       // 000000003714: 7E084504
	v_rcp_f32_e32 v5, v5                                       // 000000003718: 7E0A4505
	v_rcp_f32_e32 v6, v6                                       // 00000000371C: 7E0C4506
	v_rcp_f32_e32 v7, v7                                       // 000000003720: 7E0E4507
	v_mul_f32_e32 v40, v40, v4                                 // 000000003724: 0A500928
	v_mul_f32_e32 v41, v41, v5                                 // 000000003728: 0A520B29
	v_mul_f32_e32 v42, v42, v6                                 // 00000000372C: 0A540D2A
	v_mul_f32_e32 v43, v43, v7                                 // 000000003730: 0A560F2B
	v_mul_f32_e32 v40, v40, v44                                // 000000003734: 0A505928
	v_mul_f32_e32 v41, v41, v45                                // 000000003738: 0A525B29
	v_mul_f32_e32 v42, v42, v46                                // 00000000373C: 0A545D2A
	v_mul_f32_e32 v43, v43, v47                                // 000000003740: 0A565F2B

0000000000003744 <label_0351>:
	v_cmp_u_f32_e64 s[46:47], v40, v40                         // 000000003744: D048002E 00025128
	v_add3_u32 v16, v40, v19, 1                                // 00000000374C: D1FF0010 02062728
	v_cndmask_b32_e64 v4, v16, v18, s[46:47]                   // 000000003754: D1000004 00BA2510
	v_cmp_u_f32_e64 s[46:47], v41, v41                         // 00000000375C: D048002E 00025329
	v_add3_u32 v16, v41, v19, 1                                // 000000003764: D1FF0010 02062729
	v_cndmask_b32_e64 v5, v16, v18, s[46:47]                   // 00000000376C: D1000005 00BA2510
	v_perm_b32 v40, v5, v4, s52                                // 000000003774: D1ED0028 00D20905
	v_cmp_u_f32_e64 s[46:47], v42, v42                         // 00000000377C: D048002E 0002552A
	v_add3_u32 v16, v42, v19, 1                                // 000000003784: D1FF0010 0206272A
	v_cndmask_b32_e64 v4, v16, v18, s[46:47]                   // 00000000378C: D1000004 00BA2510
	v_cmp_u_f32_e64 s[46:47], v43, v43                         // 000000003794: D048002E 0002572B
	v_add3_u32 v16, v43, v19, 1                                // 00000000379C: D1FF0010 0206272B
	v_cndmask_b32_e64 v5, v16, v18, s[46:47]                   // 0000000037A4: D1000005 00BA2510
	v_perm_b32 v41, v5, v4, s52                                // 0000000037AC: D1ED0029 00D20905
	ds_write_b64 v20, v[40:41]                                 // 0000000037B4: D89A0000 00002814
	v_lshrrev_b32_e32 v4, 5, v0                                // 0000000037BC: 20080085
	v_xor_b32_e32 v5, 1, v4                                    // 0000000037C0: 2A0A0881
	s_mul_i32 s60, s65, 2                                      // 0000000037C4: 923C8241
	s_cmp_eq_u32 s88, 0                                        // 0000000037C8: BF068058
	s_cselect_b32 s61, 1, 4                                    // 0000000037CC: 853D8481
	s_mul_i32 s60, s61, s60                                    // 0000000037D0: 923C3C3D
	v_readlane_b32 s82, v3, 0                                  // 0000000037D4: D2890052 00010103
	s_lshr_b32 s61, s82, 24                                    // 0000000037DC: 8F3D9852
	s_and_b32 s82, s82, 0xffffff                               // 0000000037E0: 8652FF52 00FFFFFF
	s_mul_i32 s82, s82, s71                                    // 0000000037E8: 92524752
	s_mul_i32 s61, s60, s61                                    // 0000000037EC: 923D3D3C
	s_add_u32 s82, s82, s61                                    // 0000000037F0: 80523D52
	v_mul_lo_u32 v6, v5, s82                                   // 0000000037F4: D2850006 0000A505
	v_readlane_b32 s82, v3, 1                                  // 0000000037FC: D2890052 00010303
	s_lshr_b32 s61, s82, 24                                    // 000000003804: 8F3D9852
	s_and_b32 s82, s82, 0xffffff                               // 000000003808: 8652FF52 00FFFFFF
	s_mul_i32 s82, s82, s71                                    // 000000003810: 92524752
	s_mul_i32 s61, s60, s61                                    // 000000003814: 923D3D3C
	s_add_u32 s82, s82, s61                                    // 000000003818: 80523D52
	v_mul_lo_u32 v7, v4, s82                                   // 00000000381C: D2850007 0000A504
	v_add_u32_e32 v34, v6, v7                                  // 000000003824: 68440F06
	v_readlane_b32 s82, v3, 2                                  // 000000003828: D2890052 00010503
	s_lshr_b32 s61, s82, 24                                    // 000000003830: 8F3D9852
	s_and_b32 s82, s82, 0xffffff                               // 000000003834: 8652FF52 00FFFFFF
	s_mul_i32 s82, s82, s71                                    // 00000000383C: 92524752
	s_mul_i32 s61, s60, s61                                    // 000000003840: 923D3D3C
	s_add_u32 s82, s82, s61                                    // 000000003844: 80523D52
	v_mul_lo_u32 v6, v5, s82                                   // 000000003848: D2850006 0000A505
	v_readlane_b32 s82, v3, 3                                  // 000000003850: D2890052 00010703
	s_lshr_b32 s61, s82, 24                                    // 000000003858: 8F3D9852
	s_and_b32 s82, s82, 0xffffff                               // 00000000385C: 8652FF52 00FFFFFF
	s_mul_i32 s82, s82, s71                                    // 000000003864: 92524752
	s_mul_i32 s61, s60, s61                                    // 000000003868: 923D3D3C
	s_add_u32 s82, s82, s61                                    // 00000000386C: 80523D52
	v_mul_lo_u32 v7, v4, s82                                   // 000000003870: D2850007 0000A504
	v_add_u32_e32 v35, v6, v7                                  // 000000003878: 68460F06
	v_and_b32_e32 v4, 31, v0                                   // 00000000387C: 2608009F
	v_lshrrev_b32_e32 v4, 1, v4                                // 000000003880: 20080881
	s_cmp_eq_u32 s88, 0                                        // 000000003884: BF068058
	s_cselect_b32 s61, 2, 4                                    // 000000003888: 853D8482
	v_mul_lo_u32 v4, v4, s61                                   // 00000000388C: D2850004 00007B04
	v_and_b32_e64 v5, v0, 1                                    // 000000003894: D1130005 00010300
	v_add_u32_e32 v4, v4, v5                                   // 00000000389C: 68080B04
	v_lshlrev_b32_e32 v4, 2, v4                                // 0000000038A0: 24080882
	v_add_u32_e32 v34, v34, v4                                 // 0000000038A4: 68440922
	v_add_u32_e32 v35, v35, v4                                 // 0000000038A8: 68460923
	s_waitcnt lgkmcnt(0)                                       // 0000000038AC: BF8CC07F
	s_barrier                                                  // 0000000038B0: BF8A0000
	ds_read_b32 v40, v21                                       // 0000000038B4: D86C0000 28000015
	ds_read_b32 v41, v21 offset:64                             // 0000000038BC: D86C0040 29000015
	s_waitcnt lgkmcnt(0)                                       // 0000000038C4: BF8CC07F
	s_mov_b32 s36, -1                                          // 0000000038C8: BEA400C1
	s_mov_b32 s37, -1                                          // 0000000038CC: BEA500C1
	v_mov_b32_e32 v7, 0                                        // 0000000038D0: 7E0E0280
	s_or_b32 s9, s9, 0x40000                                   // 0000000038D4: 8709FF09 00040000
	s_mov_b64 exec, s[36:37]                                   // 0000000038DC: BEFE0124
	v_mov_b32_e32 v6, v34                                      // 0000000038E0: 7E0C0322
	s_mov_b64 s[60:61], 0                                      // 0000000038E4: BEBC0180
	v_readlane_b32 s82, v3, 0                                  // 0000000038E8: D2890052 00010103
	s_and_b32 s82, s82, 0xffffff                               // 0000000038F0: 8652FF52 00FFFFFF
	s_cmp_lt_u32 s82, s66                                      // 0000000038F8: BF0A4252
	s_cselect_b32 s20, s36, s60                                // 0000000038FC: 85143C24
	v_readlane_b32 s82, v3, 1                                  // 000000003900: D2890052 00010303
	s_and_b32 s82, s82, 0xffffff                               // 000000003908: 8652FF52 00FFFFFF
	s_cmp_lt_u32 s82, s66                                      // 000000003910: BF0A4252
	s_cselect_b32 s21, s36, s60                                // 000000003914: 85153C24
	s_mov_b64 exec, s[20:21]                                   // 000000003918: BEFE0114
	buffer_store_dword v40, v6, s[8:11], 0 offen               // 00000000391C: E0701000 80022806
	s_mov_b64 exec, s[36:37]                                   // 000000003924: BEFE0124
	v_mov_b32_e32 v6, v35                                      // 000000003928: 7E0C0323
	s_mov_b64 s[60:61], 0                                      // 00000000392C: BEBC0180
	v_readlane_b32 s82, v3, 2                                  // 000000003930: D2890052 00010503
	s_and_b32 s82, s82, 0xffffff                               // 000000003938: 8652FF52 00FFFFFF
	s_cmp_lt_u32 s82, s66                                      // 000000003940: BF0A4252
	s_cselect_b32 s20, s36, s60                                // 000000003944: 85143C24
	v_readlane_b32 s82, v3, 3                                  // 000000003948: D2890052 00010703
	s_and_b32 s82, s82, 0xffffff                               // 000000003950: 8652FF52 00FFFFFF
	s_cmp_lt_u32 s82, s66                                      // 000000003958: BF0A4252
	s_cselect_b32 s21, s36, s60                                // 00000000395C: 85153C24
	s_mov_b64 exec, s[20:21]                                   // 000000003960: BEFE0114
	buffer_store_dword v41, v6, s[8:11], 0 offen               // 000000003964: E0701000 80022906
	s_mov_b64 exec, s[36:37]                                   // 00000000396C: BEFE0124
	s_branch label_0837                                        // 000000003970: BF820457

0000000000003974 <label_03DD>:
	ds_write_b64 v20, v[40:41]                                 // 000000003974: D89A0000 00002814
	v_lshrrev_b32_e32 v4, 5, v0                                // 00000000397C: 20080085
	v_xor_b32_e32 v5, 1, v4                                    // 000000003980: 2A0A0881
	s_mul_i32 s60, s65, 2                                      // 000000003984: 923C8241
	s_cmp_eq_u32 s88, 0                                        // 000000003988: BF068058
	s_cselect_b32 s61, 1, 4                                    // 00000000398C: 853D8481
	s_mul_i32 s60, s61, s60                                    // 000000003990: 923C3C3D
	v_readlane_b32 s82, v3, 0                                  // 000000003994: D2890052 00010103
	s_lshr_b32 s61, s82, 24                                    // 00000000399C: 8F3D9852
	s_and_b32 s82, s82, 0xffffff                               // 0000000039A0: 8652FF52 00FFFFFF
	s_mul_i32 s82, s82, s71                                    // 0000000039A8: 92524752
	s_mul_i32 s61, s60, s61                                    // 0000000039AC: 923D3D3C
	s_add_u32 s82, s82, s61                                    // 0000000039B0: 80523D52
	v_mul_lo_u32 v6, v5, s82                                   // 0000000039B4: D2850006 0000A505
	v_readlane_b32 s82, v3, 1                                  // 0000000039BC: D2890052 00010303
	s_lshr_b32 s61, s82, 24                                    // 0000000039C4: 8F3D9852
	s_and_b32 s82, s82, 0xffffff                               // 0000000039C8: 8652FF52 00FFFFFF
	s_mul_i32 s82, s82, s71                                    // 0000000039D0: 92524752
	s_mul_i32 s61, s60, s61                                    // 0000000039D4: 923D3D3C
	s_add_u32 s82, s82, s61                                    // 0000000039D8: 80523D52
	v_mul_lo_u32 v7, v4, s82                                   // 0000000039DC: D2850007 0000A504
	v_add_u32_e32 v34, v6, v7                                  // 0000000039E4: 68440F06
	v_readlane_b32 s82, v3, 2                                  // 0000000039E8: D2890052 00010503
	s_lshr_b32 s61, s82, 24                                    // 0000000039F0: 8F3D9852
	s_and_b32 s82, s82, 0xffffff                               // 0000000039F4: 8652FF52 00FFFFFF
	s_mul_i32 s82, s82, s71                                    // 0000000039FC: 92524752
	s_mul_i32 s61, s60, s61                                    // 000000003A00: 923D3D3C
	s_add_u32 s82, s82, s61                                    // 000000003A04: 80523D52
	v_mul_lo_u32 v6, v5, s82                                   // 000000003A08: D2850006 0000A505
	v_readlane_b32 s82, v3, 3                                  // 000000003A10: D2890052 00010703
	s_lshr_b32 s61, s82, 24                                    // 000000003A18: 8F3D9852
	s_and_b32 s82, s82, 0xffffff                               // 000000003A1C: 8652FF52 00FFFFFF
	s_mul_i32 s82, s82, s71                                    // 000000003A24: 92524752
	s_mul_i32 s61, s60, s61                                    // 000000003A28: 923D3D3C
	s_add_u32 s82, s82, s61                                    // 000000003A2C: 80523D52
	v_mul_lo_u32 v7, v4, s82                                   // 000000003A30: D2850007 0000A504
	v_add_u32_e32 v35, v6, v7                                  // 000000003A38: 68460F06
	v_and_b32_e32 v4, 31, v0                                   // 000000003A3C: 2608009F
	v_lshrrev_b32_e32 v4, 1, v4                                // 000000003A40: 20080881
	s_cmp_eq_u32 s88, 0                                        // 000000003A44: BF068058
	s_cselect_b32 s61, 2, 4                                    // 000000003A48: 853D8482
	v_mul_lo_u32 v4, v4, s61                                   // 000000003A4C: D2850004 00007B04
	v_and_b32_e64 v5, v0, 1                                    // 000000003A54: D1130005 00010300
	v_add_u32_e32 v4, v4, v5                                   // 000000003A5C: 68080B04
	v_lshlrev_b32_e32 v4, 2, v4                                // 000000003A60: 24080882
	v_add_u32_e32 v34, v34, v4                                 // 000000003A64: 68440922
	v_add_u32_e32 v35, v35, v4                                 // 000000003A68: 68460923
	s_waitcnt lgkmcnt(0)                                       // 000000003A6C: BF8CC07F
	s_barrier                                                  // 000000003A70: BF8A0000
	ds_read_b32 v40, v21                                       // 000000003A74: D86C0000 28000015
	ds_read_b32 v41, v21 offset:64                             // 000000003A7C: D86C0040 29000015
	s_waitcnt lgkmcnt(0)                                       // 000000003A84: BF8CC07F
	s_mov_b32 s36, -1                                          // 000000003A88: BEA400C1
	s_mov_b32 s37, -1                                          // 000000003A8C: BEA500C1
	v_mov_b32_e32 v7, 0                                        // 000000003A90: 7E0E0280
	s_mov_b64 exec, s[36:37]                                   // 000000003A94: BEFE0124
	v_mov_b32_e32 v6, v34                                      // 000000003A98: 7E0C0322
	s_mov_b64 s[60:61], 0                                      // 000000003A9C: BEBC0180
	v_readlane_b32 s82, v3, 0                                  // 000000003AA0: D2890052 00010103
	s_and_b32 s82, s82, 0xffffff                               // 000000003AA8: 8652FF52 00FFFFFF
	s_cmp_lt_u32 s82, s66                                      // 000000003AB0: BF0A4252
	s_cselect_b32 s20, s36, s60                                // 000000003AB4: 85143C24
	v_readlane_b32 s82, v3, 1                                  // 000000003AB8: D2890052 00010303
	s_and_b32 s82, s82, 0xffffff                               // 000000003AC0: 8652FF52 00FFFFFF
	s_cmp_lt_u32 s82, s66                                      // 000000003AC8: BF0A4252
	s_cselect_b32 s21, s36, s60                                // 000000003ACC: 85153C24
	s_mov_b64 exec, s[20:21]                                   // 000000003AD0: BEFE0114
	global_atomic_add_f32 v6, v40, s[8:9]                      // 000000003AD4: DD348000 00082806
	s_mov_b64 exec, s[36:37]                                   // 000000003ADC: BEFE0124
	v_mov_b32_e32 v6, v35                                      // 000000003AE0: 7E0C0323
	s_mov_b64 s[60:61], 0                                      // 000000003AE4: BEBC0180
	v_readlane_b32 s82, v3, 2                                  // 000000003AE8: D2890052 00010503
	s_and_b32 s82, s82, 0xffffff                               // 000000003AF0: 8652FF52 00FFFFFF
	s_cmp_lt_u32 s82, s66                                      // 000000003AF8: BF0A4252
	s_cselect_b32 s20, s36, s60                                // 000000003AFC: 85143C24
	v_readlane_b32 s82, v3, 3                                  // 000000003B00: D2890052 00010703
	s_and_b32 s82, s82, 0xffffff                               // 000000003B08: 8652FF52 00FFFFFF
	s_cmp_lt_u32 s82, s66                                      // 000000003B10: BF0A4252
	s_cselect_b32 s21, s36, s60                                // 000000003B14: 85153C24
	s_mov_b64 exec, s[20:21]                                   // 000000003B18: BEFE0114
	global_atomic_add_f32 v6, v41, s[8:9]                      // 000000003B1C: DD348000 00082906
	s_mov_b64 exec, s[36:37]                                   // 000000003B24: BEFE0124
	ds_write_b64 v20, v[42:43]                                 // 000000003B28: D89A0000 00002A14
	s_waitcnt lgkmcnt(0)                                       // 000000003B30: BF8CC07F
	s_barrier                                                  // 000000003B34: BF8A0000
	ds_read_b32 v42, v21                                       // 000000003B38: D86C0000 2A000015
	ds_read_b32 v43, v21 offset:64                             // 000000003B40: D86C0040 2B000015
	s_waitcnt lgkmcnt(0)                                       // 000000003B48: BF8CC07F
	v_mov_b32_e32 v7, 0                                        // 000000003B4C: 7E0E0280
	s_mov_b64 exec, s[36:37]                                   // 000000003B50: BEFE0124
	v_mov_b32_e32 v6, v34                                      // 000000003B54: 7E0C0322
	s_mov_b64 s[60:61], 0                                      // 000000003B58: BEBC0180
	v_readlane_b32 s82, v3, 0                                  // 000000003B5C: D2890052 00010103
	s_and_b32 s82, s82, 0xffffff                               // 000000003B64: 8652FF52 00FFFFFF
	s_cmp_lt_u32 s82, s66                                      // 000000003B6C: BF0A4252
	s_cselect_b32 s20, s36, s60                                // 000000003B70: 85143C24
	v_readlane_b32 s82, v3, 1                                  // 000000003B74: D2890052 00010303
	s_and_b32 s82, s82, 0xffffff                               // 000000003B7C: 8652FF52 00FFFFFF
	s_cmp_lt_u32 s82, s66                                      // 000000003B84: BF0A4252
	s_cselect_b32 s21, s36, s60                                // 000000003B88: 85153C24
	s_mov_b64 exec, s[20:21]                                   // 000000003B8C: BEFE0114
	global_atomic_add_f32 v6, v42, s[8:9] offset:8             // 000000003B90: DD348008 00082A06
	s_mov_b64 exec, s[36:37]                                   // 000000003B98: BEFE0124
	v_mov_b32_e32 v6, v35                                      // 000000003B9C: 7E0C0323
	s_mov_b64 s[60:61], 0                                      // 000000003BA0: BEBC0180
	v_readlane_b32 s82, v3, 2                                  // 000000003BA4: D2890052 00010503
	s_and_b32 s82, s82, 0xffffff                               // 000000003BAC: 8652FF52 00FFFFFF
	s_cmp_lt_u32 s82, s66                                      // 000000003BB4: BF0A4252
	s_cselect_b32 s20, s36, s60                                // 000000003BB8: 85143C24
	v_readlane_b32 s82, v3, 3                                  // 000000003BBC: D2890052 00010703
	s_and_b32 s82, s82, 0xffffff                               // 000000003BC4: 8652FF52 00FFFFFF
	s_cmp_lt_u32 s82, s66                                      // 000000003BCC: BF0A4252
	s_cselect_b32 s21, s36, s60                                // 000000003BD0: 85153C24
	s_mov_b64 exec, s[20:21]                                   // 000000003BD4: BEFE0114
	global_atomic_add_f32 v6, v43, s[8:9] offset:8             // 000000003BD8: DD348008 00082B06
	s_mov_b64 exec, s[36:37]                                   // 000000003BE0: BEFE0124
	ds_write_b64 v20, v[44:45]                                 // 000000003BE4: D89A0000 00002C14
	s_waitcnt lgkmcnt(0)                                       // 000000003BEC: BF8CC07F
	s_barrier                                                  // 000000003BF0: BF8A0000
	ds_read_b32 v44, v21                                       // 000000003BF4: D86C0000 2C000015
	ds_read_b32 v45, v21 offset:64                             // 000000003BFC: D86C0040 2D000015
	s_mul_i32 s60, s65, 4                                      // 000000003C04: 923C8441
	s_add_u32 s8, s60, s8                                      // 000000003C08: 8008083C
	s_addc_u32 s9, 0, s9                                       // 000000003C0C: 82090980
	s_waitcnt lgkmcnt(0)                                       // 000000003C10: BF8CC07F
	v_mov_b32_e32 v7, 0                                        // 000000003C14: 7E0E0280
	s_mov_b64 exec, s[36:37]                                   // 000000003C18: BEFE0124
	v_mov_b32_e32 v6, v34                                      // 000000003C1C: 7E0C0322
	s_mov_b64 s[60:61], 0                                      // 000000003C20: BEBC0180
	v_readlane_b32 s82, v3, 0                                  // 000000003C24: D2890052 00010103
	s_and_b32 s82, s82, 0xffffff                               // 000000003C2C: 8652FF52 00FFFFFF
	s_cmp_lt_u32 s82, s66                                      // 000000003C34: BF0A4252
	s_cselect_b32 s20, s36, s60                                // 000000003C38: 85143C24
	v_readlane_b32 s82, v3, 1                                  // 000000003C3C: D2890052 00010303
	s_and_b32 s82, s82, 0xffffff                               // 000000003C44: 8652FF52 00FFFFFF
	s_cmp_lt_u32 s82, s66                                      // 000000003C4C: BF0A4252
	s_cselect_b32 s21, s36, s60                                // 000000003C50: 85153C24
	s_mov_b64 exec, s[20:21]                                   // 000000003C54: BEFE0114
	global_atomic_add_f32 v6, v44, s[8:9]                      // 000000003C58: DD348000 00082C06
	s_mov_b64 exec, s[36:37]                                   // 000000003C60: BEFE0124
	v_mov_b32_e32 v6, v35                                      // 000000003C64: 7E0C0323
	s_mov_b64 s[60:61], 0                                      // 000000003C68: BEBC0180
	v_readlane_b32 s82, v3, 2                                  // 000000003C6C: D2890052 00010503
	s_and_b32 s82, s82, 0xffffff                               // 000000003C74: 8652FF52 00FFFFFF
	s_cmp_lt_u32 s82, s66                                      // 000000003C7C: BF0A4252
	s_cselect_b32 s20, s36, s60                                // 000000003C80: 85143C24
	v_readlane_b32 s82, v3, 3                                  // 000000003C84: D2890052 00010703
	s_and_b32 s82, s82, 0xffffff                               // 000000003C8C: 8652FF52 00FFFFFF
	s_cmp_lt_u32 s82, s66                                      // 000000003C94: BF0A4252
	s_cselect_b32 s21, s36, s60                                // 000000003C98: 85153C24
	s_mov_b64 exec, s[20:21]                                   // 000000003C9C: BEFE0114
	global_atomic_add_f32 v6, v45, s[8:9]                      // 000000003CA0: DD348000 00082D06
	s_mov_b64 exec, s[36:37]                                   // 000000003CA8: BEFE0124
	ds_write_b64 v20, v[46:47]                                 // 000000003CAC: D89A0000 00002E14
	s_waitcnt lgkmcnt(0)                                       // 000000003CB4: BF8CC07F
	s_barrier                                                  // 000000003CB8: BF8A0000
	ds_read_b32 v46, v21                                       // 000000003CBC: D86C0000 2E000015
	ds_read_b32 v47, v21 offset:64                             // 000000003CC4: D86C0040 2F000015
	s_waitcnt lgkmcnt(0)                                       // 000000003CCC: BF8CC07F
	v_mov_b32_e32 v7, 0                                        // 000000003CD0: 7E0E0280
	s_mov_b64 exec, s[36:37]                                   // 000000003CD4: BEFE0124
	v_mov_b32_e32 v6, v34                                      // 000000003CD8: 7E0C0322
	s_mov_b64 s[60:61], 0                                      // 000000003CDC: BEBC0180
	v_readlane_b32 s82, v3, 0                                  // 000000003CE0: D2890052 00010103
	s_and_b32 s82, s82, 0xffffff                               // 000000003CE8: 8652FF52 00FFFFFF
	s_cmp_lt_u32 s82, s66                                      // 000000003CF0: BF0A4252
	s_cselect_b32 s20, s36, s60                                // 000000003CF4: 85143C24
	v_readlane_b32 s82, v3, 1                                  // 000000003CF8: D2890052 00010303
	s_and_b32 s82, s82, 0xffffff                               // 000000003D00: 8652FF52 00FFFFFF
	s_cmp_lt_u32 s82, s66                                      // 000000003D08: BF0A4252
	s_cselect_b32 s21, s36, s60                                // 000000003D0C: 85153C24
	s_mov_b64 exec, s[20:21]                                   // 000000003D10: BEFE0114
	global_atomic_add_f32 v6, v46, s[8:9] offset:8             // 000000003D14: DD348008 00082E06
	s_mov_b64 exec, s[36:37]                                   // 000000003D1C: BEFE0124
	v_mov_b32_e32 v6, v35                                      // 000000003D20: 7E0C0323
	s_mov_b64 s[60:61], 0                                      // 000000003D24: BEBC0180
	v_readlane_b32 s82, v3, 2                                  // 000000003D28: D2890052 00010503
	s_and_b32 s82, s82, 0xffffff                               // 000000003D30: 8652FF52 00FFFFFF
	s_cmp_lt_u32 s82, s66                                      // 000000003D38: BF0A4252
	s_cselect_b32 s20, s36, s60                                // 000000003D3C: 85143C24
	v_readlane_b32 s82, v3, 3                                  // 000000003D40: D2890052 00010703
	s_and_b32 s82, s82, 0xffffff                               // 000000003D48: 8652FF52 00FFFFFF
	s_cmp_lt_u32 s82, s66                                      // 000000003D50: BF0A4252
	s_cselect_b32 s21, s36, s60                                // 000000003D54: 85153C24
	s_mov_b64 exec, s[20:21]                                   // 000000003D58: BEFE0114
	global_atomic_add_f32 v6, v47, s[8:9] offset:8             // 000000003D5C: DD348008 00082F06
	s_mov_b64 exec, s[36:37]                                   // 000000003D64: BEFE0124
	s_branch label_0837                                        // 000000003D68: BF820359

0000000000003d6c <label_04DE>:
	s_waitcnt vmcnt(4) lgkmcnt(0)                              // 000000003D6C: BF8C0074
	v_mfma_f32_16x16x32_fp8_fp8 v[40:43], a[16:17], a[0:1], v[40:43]// 000000003D70: D3F30028 1CA20110
	buffer_load_dwordx4 a[32:35], v36, s[24:27], 0 offen       // 000000003D78: E05C1000 80862024
	v_mfma_f32_16x16x32_fp8_fp8 v[40:43], a[18:19], a[2:3], v[40:43]// 000000003D80: D3F30028 1CA20512
	v_mfma_f32_16x16x32_fp8_fp8 v[40:43], a[20:21], a[4:5], v[40:43]// 000000003D88: D3F30028 1CA20914
	v_mfma_f32_16x16x32_fp8_fp8 v[40:43], a[22:23], a[6:7], v[40:43]// 000000003D90: D3F30028 1CA20D16
	buffer_load_dwordx4 a[36:39], v36, s[24:27], 0 offen offset:1024// 000000003D98: E05C1400 80862424
	buffer_load_dword v34, s[20:23], 0 offen lds               // 000000003DA0: E0511000 80050022
	s_add_u32 m0, 0x100, s50                                   // 000000003DA8: 807C32FF 00000100
	buffer_load_dword v35, s[20:23], 0 offen lds               // 000000003DB0: E0511000 80050023
	s_add_u32 m0, 0, s48                                       // 000000003DB8: 807C3080
	s_waitcnt vmcnt(4)                                         // 000000003DBC: BF8C0F74
	s_barrier                                                  // 000000003DC0: BF8A0000
	v_mfma_f32_16x16x32_fp8_fp8 v[44:47], a[24:25], a[0:1], v[44:47]// 000000003DC4: D3F3002C 1CB20118
	buffer_load_dwordx4 a[16:19], v36, s[84:87], 0 offen       // 000000003DCC: E05C1000 80951024
	v_mfma_f32_16x16x32_fp8_fp8 v[44:47], a[26:27], a[2:3], v[44:47]// 000000003DD4: D3F3002C 1CB2051A
	v_mfma_f32_16x16x32_fp8_fp8 v[44:47], a[28:29], a[4:5], v[44:47]// 000000003DDC: D3F3002C 1CB2091C
	ds_read_b128 a[8:11], v2 offset:2176                       // 000000003DE4: DBFE0880 08000002
	ds_read_b128 a[12:15], v2 offset:2240                      // 000000003DEC: DBFE08C0 0C000002
	v_mfma_f32_16x16x32_fp8_fp8 v[44:47], a[30:31], a[6:7], v[44:47]// 000000003DF4: D3F3002C 1CB20D1E
	buffer_load_dwordx4 a[20:23], v36, s[84:87], 0 offen offset:1024// 000000003DFC: E05C1400 80951424
	s_add_u32 s60, 0x180, s80                                  // 000000003E04: 803C50FF 00000180
	s_cmp_lt_u32 s60, s81                                      // 000000003E0C: BF0A513C
	s_cselect_b32 s57, s57, 0                                  // 000000003E10: 85398039
	s_add_u32 s60, 0x100, s80                                  // 000000003E14: 803C50FF 00000100
	s_cmp_lt_u32 s60, s81                                      // 000000003E1C: BF0A513C
	s_cselect_b32 s58, s58, 0                                  // 000000003E20: 853A803A
	s_add_u32 s60, 0x100, s80                                  // 000000003E24: 803C50FF 00000100
	s_cmp_lt_u32 s60, s81                                      // 000000003E2C: BF0A513C
	s_cselect_b32 s83, s83, 0                                  // 000000003E30: 85538053
	s_add_u32 s20, s57, s20                                    // 000000003E34: 80141439
	s_addc_u32 s21, 0, s21                                     // 000000003E38: 82151580
	s_add_u32 s84, s83, s84                                    // 000000003E3C: 80545453
	s_addc_u32 s85, 0, s85                                     // 000000003E40: 82555580
	s_add_u32 s24, s58, s24                                    // 000000003E44: 8018183A
	s_addc_u32 s25, 0, s25                                     // 000000003E48: 82191980
	s_addk_i32 s80, 0x80                                       // 000000003E4C: B7500080
	s_cmp_lt_i32 s80, s81                                      // 000000003E50: BF045150
	s_cbranch_scc0 label_0641                                  // 000000003E54: BF840128
	s_waitcnt vmcnt(4) lgkmcnt(0)                              // 000000003E58: BF8C0074
	v_mfma_f32_16x16x32_fp8_fp8 v[40:43], a[32:33], a[8:9], v[40:43]// 000000003E5C: D3F30028 1CA21120
	buffer_load_dwordx4 a[24:27], v36, s[24:27], 0 offen       // 000000003E64: E05C1000 80861824
	v_mfma_f32_16x16x32_fp8_fp8 v[40:43], a[34:35], a[10:11], v[40:43]// 000000003E6C: D3F30028 1CA21522
	v_mfma_f32_16x16x32_fp8_fp8 v[40:43], a[36:37], a[12:13], v[40:43]// 000000003E74: D3F30028 1CA21924
	v_mfma_f32_16x16x32_fp8_fp8 v[40:43], a[38:39], a[14:15], v[40:43]// 000000003E7C: D3F30028 1CA21D26
	buffer_load_dwordx4 a[28:31], v36, s[24:27], 0 offen offset:1024// 000000003E84: E05C1400 80861C24
	buffer_load_dword v34, s[20:23], 0 offen lds               // 000000003E8C: E0511000 80050022
	s_add_u32 m0, 0x100, s48                                   // 000000003E94: 807C30FF 00000100
	buffer_load_dword v35, s[20:23], 0 offen lds               // 000000003E9C: E0511000 80050023
	s_add_u32 m0, 0, s49                                       // 000000003EA4: 807C3180
	s_waitcnt vmcnt(4)                                         // 000000003EA8: BF8C0F74
	s_barrier                                                  // 000000003EAC: BF8A0000
	v_mfma_f32_16x16x32_fp8_fp8 v[44:47], a[16:17], a[8:9], v[44:47]// 000000003EB0: D3F3002C 1CB21110
	buffer_load_dwordx4 a[32:35], v36, s[84:87], 0 offen       // 000000003EB8: E05C1000 80952024
	v_mfma_f32_16x16x32_fp8_fp8 v[44:47], a[18:19], a[10:11], v[44:47]// 000000003EC0: D3F3002C 1CB21512
	v_mfma_f32_16x16x32_fp8_fp8 v[44:47], a[20:21], a[12:13], v[44:47]// 000000003EC8: D3F3002C 1CB21914
	ds_read_b128 a[0:3], v2 offset:4352                        // 000000003ED0: DBFE1100 00000002
	ds_read_b128 a[4:7], v2 offset:4416                        // 000000003ED8: DBFE1140 04000002
	v_mfma_f32_16x16x32_fp8_fp8 v[44:47], a[22:23], a[14:15], v[44:47]// 000000003EE0: D3F3002C 1CB21D16
	buffer_load_dwordx4 a[36:39], v36, s[84:87], 0 offen offset:1024// 000000003EE8: E05C1400 80952424
	s_add_u32 s60, 0x180, s80                                  // 000000003EF0: 803C50FF 00000180
	s_cmp_lt_u32 s60, s81                                      // 000000003EF8: BF0A513C
	s_cselect_b32 s57, s57, 0                                  // 000000003EFC: 85398039
	s_add_u32 s60, 0x100, s80                                  // 000000003F00: 803C50FF 00000100
	s_cmp_lt_u32 s60, s81                                      // 000000003F08: BF0A513C
	s_cselect_b32 s58, s58, 0                                  // 000000003F0C: 853A803A
	s_add_u32 s60, 0x100, s80                                  // 000000003F10: 803C50FF 00000100
	s_cmp_lt_u32 s60, s81                                      // 000000003F18: BF0A513C
	s_cselect_b32 s83, s83, 0                                  // 000000003F1C: 85538053
	s_add_u32 s20, s57, s20                                    // 000000003F20: 80141439
	s_addc_u32 s21, 0, s21                                     // 000000003F24: 82151580
	s_add_u32 s84, s83, s84                                    // 000000003F28: 80545453
	s_addc_u32 s85, 0, s85                                     // 000000003F2C: 82555580
	s_add_u32 s24, s58, s24                                    // 000000003F30: 8018183A
	s_addc_u32 s25, 0, s25                                     // 000000003F34: 82191980
	s_addk_i32 s80, 0x80                                       // 000000003F38: B7500080
	s_cmp_lt_i32 s80, s81                                      // 000000003F3C: BF045150
	s_cbranch_scc0 label_0641                                  // 000000003F40: BF8400ED
	s_waitcnt vmcnt(4) lgkmcnt(0)                              // 000000003F44: BF8C0074
	v_mfma_f32_16x16x32_fp8_fp8 v[40:43], a[24:25], a[0:1], v[40:43]// 000000003F48: D3F30028 1CA20118
	buffer_load_dwordx4 a[16:19], v36, s[24:27], 0 offen       // 000000003F50: E05C1000 80861024
	v_mfma_f32_16x16x32_fp8_fp8 v[40:43], a[26:27], a[2:3], v[40:43]// 000000003F58: D3F30028 1CA2051A
	v_mfma_f32_16x16x32_fp8_fp8 v[40:43], a[28:29], a[4:5], v[40:43]// 000000003F60: D3F30028 1CA2091C
	v_mfma_f32_16x16x32_fp8_fp8 v[40:43], a[30:31], a[6:7], v[40:43]// 000000003F68: D3F30028 1CA20D1E
	buffer_load_dwordx4 a[20:23], v36, s[24:27], 0 offen offset:1024// 000000003F70: E05C1400 80861424
	buffer_load_dword v34, s[20:23], 0 offen lds               // 000000003F78: E0511000 80050022
	s_add_u32 m0, 0x100, s49                                   // 000000003F80: 807C31FF 00000100
	buffer_load_dword v35, s[20:23], 0 offen lds               // 000000003F88: E0511000 80050023
	s_add_u32 m0, 0, s50                                       // 000000003F90: 807C3280
	s_waitcnt vmcnt(4)                                         // 000000003F94: BF8C0F74
	s_barrier                                                  // 000000003F98: BF8A0000
	v_mfma_f32_16x16x32_fp8_fp8 v[44:47], a[32:33], a[0:1], v[44:47]// 000000003F9C: D3F3002C 1CB20120
	buffer_load_dwordx4 a[24:27], v36, s[84:87], 0 offen       // 000000003FA4: E05C1000 80951824
	v_mfma_f32_16x16x32_fp8_fp8 v[44:47], a[34:35], a[2:3], v[44:47]// 000000003FAC: D3F3002C 1CB20522
	v_mfma_f32_16x16x32_fp8_fp8 v[44:47], a[36:37], a[4:5], v[44:47]// 000000003FB4: D3F3002C 1CB20924
	ds_read_b128 a[8:11], v2                                   // 000000003FBC: DBFE0000 08000002
	ds_read_b128 a[12:15], v2 offset:64                        // 000000003FC4: DBFE0040 0C000002
	v_mfma_f32_16x16x32_fp8_fp8 v[44:47], a[38:39], a[6:7], v[44:47]// 000000003FCC: D3F3002C 1CB20D26
	buffer_load_dwordx4 a[28:31], v36, s[84:87], 0 offen offset:1024// 000000003FD4: E05C1400 80951C24
	s_add_u32 s60, 0x180, s80                                  // 000000003FDC: 803C50FF 00000180
	s_cmp_lt_u32 s60, s81                                      // 000000003FE4: BF0A513C
	s_cselect_b32 s57, s57, 0                                  // 000000003FE8: 85398039
	s_add_u32 s60, 0x100, s80                                  // 000000003FEC: 803C50FF 00000100
	s_cmp_lt_u32 s60, s81                                      // 000000003FF4: BF0A513C
	s_cselect_b32 s58, s58, 0                                  // 000000003FF8: 853A803A
	s_add_u32 s60, 0x100, s80                                  // 000000003FFC: 803C50FF 00000100
	s_cmp_lt_u32 s60, s81                                      // 000000004004: BF0A513C
	s_cselect_b32 s83, s83, 0                                  // 000000004008: 85538053
	s_add_u32 s20, s57, s20                                    // 00000000400C: 80141439
	s_addc_u32 s21, 0, s21                                     // 000000004010: 82151580
	s_add_u32 s84, s83, s84                                    // 000000004014: 80545453
	s_addc_u32 s85, 0, s85                                     // 000000004018: 82555580
	s_add_u32 s24, s58, s24                                    // 00000000401C: 8018183A
	s_addc_u32 s25, 0, s25                                     // 000000004020: 82191980
	s_addk_i32 s80, 0x80                                       // 000000004024: B7500080
	s_cmp_lt_i32 s80, s81                                      // 000000004028: BF045150
	s_cbranch_scc0 label_0641                                  // 00000000402C: BF8400B2
	s_waitcnt vmcnt(4) lgkmcnt(0)                              // 000000004030: BF8C0074
	v_mfma_f32_16x16x32_fp8_fp8 v[40:43], a[16:17], a[8:9], v[40:43]// 000000004034: D3F30028 1CA21110
	buffer_load_dwordx4 a[32:35], v36, s[24:27], 0 offen       // 00000000403C: E05C1000 80862024
	v_mfma_f32_16x16x32_fp8_fp8 v[40:43], a[18:19], a[10:11], v[40:43]// 000000004044: D3F30028 1CA21512
	v_mfma_f32_16x16x32_fp8_fp8 v[40:43], a[20:21], a[12:13], v[40:43]// 00000000404C: D3F30028 1CA21914
	v_mfma_f32_16x16x32_fp8_fp8 v[40:43], a[22:23], a[14:15], v[40:43]// 000000004054: D3F30028 1CA21D16
	buffer_load_dwordx4 a[36:39], v36, s[24:27], 0 offen offset:1024// 00000000405C: E05C1400 80862424
	buffer_load_dword v34, s[20:23], 0 offen lds               // 000000004064: E0511000 80050022
	s_add_u32 m0, 0x100, s50                                   // 00000000406C: 807C32FF 00000100
	buffer_load_dword v35, s[20:23], 0 offen lds               // 000000004074: E0511000 80050023
	s_add_u32 m0, 0, s48                                       // 00000000407C: 807C3080
	s_waitcnt vmcnt(4)                                         // 000000004080: BF8C0F74
	s_barrier                                                  // 000000004084: BF8A0000
	v_mfma_f32_16x16x32_fp8_fp8 v[44:47], a[24:25], a[8:9], v[44:47]// 000000004088: D3F3002C 1CB21118
	buffer_load_dwordx4 a[16:19], v36, s[84:87], 0 offen       // 000000004090: E05C1000 80951024
	v_mfma_f32_16x16x32_fp8_fp8 v[44:47], a[26:27], a[10:11], v[44:47]// 000000004098: D3F3002C 1CB2151A
	v_mfma_f32_16x16x32_fp8_fp8 v[44:47], a[28:29], a[12:13], v[44:47]// 0000000040A0: D3F3002C 1CB2191C
	ds_read_b128 a[0:3], v2 offset:2176                        // 0000000040A8: DBFE0880 00000002
	ds_read_b128 a[4:7], v2 offset:2240                        // 0000000040B0: DBFE08C0 04000002
	v_mfma_f32_16x16x32_fp8_fp8 v[44:47], a[30:31], a[14:15], v[44:47]// 0000000040B8: D3F3002C 1CB21D1E
	buffer_load_dwordx4 a[20:23], v36, s[84:87], 0 offen offset:1024// 0000000040C0: E05C1400 80951424
	s_add_u32 s60, 0x180, s80                                  // 0000000040C8: 803C50FF 00000180
	s_cmp_lt_u32 s60, s81                                      // 0000000040D0: BF0A513C
	s_cselect_b32 s57, s57, 0                                  // 0000000040D4: 85398039
	s_add_u32 s60, 0x100, s80                                  // 0000000040D8: 803C50FF 00000100
	s_cmp_lt_u32 s60, s81                                      // 0000000040E0: BF0A513C
	s_cselect_b32 s58, s58, 0                                  // 0000000040E4: 853A803A
	s_add_u32 s60, 0x100, s80                                  // 0000000040E8: 803C50FF 00000100
	s_cmp_lt_u32 s60, s81                                      // 0000000040F0: BF0A513C
	s_cselect_b32 s83, s83, 0                                  // 0000000040F4: 85538053
	s_add_u32 s20, s57, s20                                    // 0000000040F8: 80141439
	s_addc_u32 s21, 0, s21                                     // 0000000040FC: 82151580
	s_add_u32 s84, s83, s84                                    // 000000004100: 80545453
	s_addc_u32 s85, 0, s85                                     // 000000004104: 82555580
	s_add_u32 s24, s58, s24                                    // 000000004108: 8018183A
	s_addc_u32 s25, 0, s25                                     // 00000000410C: 82191980
	s_addk_i32 s80, 0x80                                       // 000000004110: B7500080
	s_cmp_lt_i32 s80, s81                                      // 000000004114: BF045150
	s_cbranch_scc0 label_0641                                  // 000000004118: BF840077
	s_waitcnt vmcnt(4) lgkmcnt(0)                              // 00000000411C: BF8C0074
	v_mfma_f32_16x16x32_fp8_fp8 v[40:43], a[32:33], a[0:1], v[40:43]// 000000004120: D3F30028 1CA20120
	buffer_load_dwordx4 a[24:27], v36, s[24:27], 0 offen       // 000000004128: E05C1000 80861824
	v_mfma_f32_16x16x32_fp8_fp8 v[40:43], a[34:35], a[2:3], v[40:43]// 000000004130: D3F30028 1CA20522
	v_mfma_f32_16x16x32_fp8_fp8 v[40:43], a[36:37], a[4:5], v[40:43]// 000000004138: D3F30028 1CA20924
	v_mfma_f32_16x16x32_fp8_fp8 v[40:43], a[38:39], a[6:7], v[40:43]// 000000004140: D3F30028 1CA20D26
	buffer_load_dwordx4 a[28:31], v36, s[24:27], 0 offen offset:1024// 000000004148: E05C1400 80861C24
	buffer_load_dword v34, s[20:23], 0 offen lds               // 000000004150: E0511000 80050022
	s_add_u32 m0, 0x100, s48                                   // 000000004158: 807C30FF 00000100
	buffer_load_dword v35, s[20:23], 0 offen lds               // 000000004160: E0511000 80050023
	s_add_u32 m0, 0, s49                                       // 000000004168: 807C3180
	s_waitcnt vmcnt(4)                                         // 00000000416C: BF8C0F74
	s_barrier                                                  // 000000004170: BF8A0000
	v_mfma_f32_16x16x32_fp8_fp8 v[44:47], a[16:17], a[0:1], v[44:47]// 000000004174: D3F3002C 1CB20110
	buffer_load_dwordx4 a[32:35], v36, s[84:87], 0 offen       // 00000000417C: E05C1000 80952024
	v_mfma_f32_16x16x32_fp8_fp8 v[44:47], a[18:19], a[2:3], v[44:47]// 000000004184: D3F3002C 1CB20512
	v_mfma_f32_16x16x32_fp8_fp8 v[44:47], a[20:21], a[4:5], v[44:47]// 00000000418C: D3F3002C 1CB20914
	ds_read_b128 a[8:11], v2 offset:4352                       // 000000004194: DBFE1100 08000002
	ds_read_b128 a[12:15], v2 offset:4416                      // 00000000419C: DBFE1140 0C000002
	v_mfma_f32_16x16x32_fp8_fp8 v[44:47], a[22:23], a[6:7], v[44:47]// 0000000041A4: D3F3002C 1CB20D16
	buffer_load_dwordx4 a[36:39], v36, s[84:87], 0 offen offset:1024// 0000000041AC: E05C1400 80952424
	s_add_u32 s60, 0x180, s80                                  // 0000000041B4: 803C50FF 00000180
	s_cmp_lt_u32 s60, s81                                      // 0000000041BC: BF0A513C
	s_cselect_b32 s57, s57, 0                                  // 0000000041C0: 85398039
	s_add_u32 s60, 0x100, s80                                  // 0000000041C4: 803C50FF 00000100
	s_cmp_lt_u32 s60, s81                                      // 0000000041CC: BF0A513C
	s_cselect_b32 s58, s58, 0                                  // 0000000041D0: 853A803A
	s_add_u32 s60, 0x100, s80                                  // 0000000041D4: 803C50FF 00000100
	s_cmp_lt_u32 s60, s81                                      // 0000000041DC: BF0A513C
	s_cselect_b32 s83, s83, 0                                  // 0000000041E0: 85538053
	s_add_u32 s20, s57, s20                                    // 0000000041E4: 80141439
	s_addc_u32 s21, 0, s21                                     // 0000000041E8: 82151580
	s_add_u32 s84, s83, s84                                    // 0000000041EC: 80545453
	s_addc_u32 s85, 0, s85                                     // 0000000041F0: 82555580
	s_add_u32 s24, s58, s24                                    // 0000000041F4: 8018183A
	s_addc_u32 s25, 0, s25                                     // 0000000041F8: 82191980
	s_addk_i32 s80, 0x80                                       // 0000000041FC: B7500080
	s_cmp_lt_i32 s80, s81                                      // 000000004200: BF045150
	s_cbranch_scc0 label_0641                                  // 000000004204: BF84003C
	s_waitcnt vmcnt(4) lgkmcnt(0)                              // 000000004208: BF8C0074
	v_mfma_f32_16x16x32_fp8_fp8 v[40:43], a[24:25], a[8:9], v[40:43]// 00000000420C: D3F30028 1CA21118
	buffer_load_dwordx4 a[16:19], v36, s[24:27], 0 offen       // 000000004214: E05C1000 80861024
	v_mfma_f32_16x16x32_fp8_fp8 v[40:43], a[26:27], a[10:11], v[40:43]// 00000000421C: D3F30028 1CA2151A
	v_mfma_f32_16x16x32_fp8_fp8 v[40:43], a[28:29], a[12:13], v[40:43]// 000000004224: D3F30028 1CA2191C
	v_mfma_f32_16x16x32_fp8_fp8 v[40:43], a[30:31], a[14:15], v[40:43]// 00000000422C: D3F30028 1CA21D1E
	buffer_load_dwordx4 a[20:23], v36, s[24:27], 0 offen offset:1024// 000000004234: E05C1400 80861424
	buffer_load_dword v34, s[20:23], 0 offen lds               // 00000000423C: E0511000 80050022
	s_add_u32 m0, 0x100, s49                                   // 000000004244: 807C31FF 00000100
	buffer_load_dword v35, s[20:23], 0 offen lds               // 00000000424C: E0511000 80050023
	s_add_u32 m0, 0, s50                                       // 000000004254: 807C3280
	s_waitcnt vmcnt(4)                                         // 000000004258: BF8C0F74
	s_barrier                                                  // 00000000425C: BF8A0000
	v_mfma_f32_16x16x32_fp8_fp8 v[44:47], a[32:33], a[8:9], v[44:47]// 000000004260: D3F3002C 1CB21120
	buffer_load_dwordx4 a[24:27], v36, s[84:87], 0 offen       // 000000004268: E05C1000 80951824
	v_mfma_f32_16x16x32_fp8_fp8 v[44:47], a[34:35], a[10:11], v[44:47]// 000000004270: D3F3002C 1CB21522
	v_mfma_f32_16x16x32_fp8_fp8 v[44:47], a[36:37], a[12:13], v[44:47]// 000000004278: D3F3002C 1CB21924
	ds_read_b128 a[0:3], v2                                    // 000000004280: DBFE0000 00000002
	ds_read_b128 a[4:7], v2 offset:64                          // 000000004288: DBFE0040 04000002
	v_mfma_f32_16x16x32_fp8_fp8 v[44:47], a[38:39], a[14:15], v[44:47]// 000000004290: D3F3002C 1CB21D26
	buffer_load_dwordx4 a[28:31], v36, s[84:87], 0 offen offset:1024// 000000004298: E05C1400 80951C24
	s_add_u32 s60, 0x180, s80                                  // 0000000042A0: 803C50FF 00000180
	s_cmp_lt_u32 s60, s81                                      // 0000000042A8: BF0A513C
	s_cselect_b32 s57, s57, 0                                  // 0000000042AC: 85398039
	s_add_u32 s60, 0x100, s80                                  // 0000000042B0: 803C50FF 00000100
	s_cmp_lt_u32 s60, s81                                      // 0000000042B8: BF0A513C
	s_cselect_b32 s58, s58, 0                                  // 0000000042BC: 853A803A
	s_add_u32 s60, 0x100, s80                                  // 0000000042C0: 803C50FF 00000100
	s_cmp_lt_u32 s60, s81                                      // 0000000042C8: BF0A513C
	s_cselect_b32 s83, s83, 0                                  // 0000000042CC: 85538053
	s_add_u32 s20, s57, s20                                    // 0000000042D0: 80141439
	s_addc_u32 s21, 0, s21                                     // 0000000042D4: 82151580
	s_add_u32 s84, s83, s84                                    // 0000000042D8: 80545453
	s_addc_u32 s85, 0, s85                                     // 0000000042DC: 82555580
	s_add_u32 s24, s58, s24                                    // 0000000042E0: 8018183A
	s_addc_u32 s25, 0, s25                                     // 0000000042E4: 82191980
	s_addk_i32 s80, 0x80                                       // 0000000042E8: B7500080
	s_cmp_lt_i32 s80, s81                                      // 0000000042EC: BF045150
	s_cbranch_scc0 label_0641                                  // 0000000042F0: BF840001
	s_branch label_04DE                                        // 0000000042F4: BF82FE9D

00000000000042f8 <label_0641>:
	v_mul_f32_dpp v40, v24, v40 row_newbcast:0 row_mask:0xf bank_mask:0xf// 0000000042F8: 0A5050FA FF015018
	v_mul_f32_dpp v41, v24, v41 row_newbcast:1 row_mask:0xf bank_mask:0xf// 000000004300: 0A5252FA FF015118
	v_mul_f32_dpp v42, v24, v42 row_newbcast:2 row_mask:0xf bank_mask:0xf// 000000004308: 0A5454FA FF015218
	v_mul_f32_dpp v43, v24, v43 row_newbcast:3 row_mask:0xf bank_mask:0xf// 000000004310: 0A5656FA FF015318
	v_mul_f32_dpp v44, v27, v44 row_newbcast:0 row_mask:0xf bank_mask:0xf// 000000004318: 0A5858FA FF01501B
	v_mul_f32_dpp v45, v27, v45 row_newbcast:1 row_mask:0xf bank_mask:0xf// 000000004320: 0A5A5AFA FF01511B
	v_mul_f32_dpp v46, v27, v46 row_newbcast:2 row_mask:0xf bank_mask:0xf// 000000004328: 0A5C5CFA FF01521B
	v_mul_f32_dpp v47, v27, v47 row_newbcast:3 row_mask:0xf bank_mask:0xf// 000000004330: 0A5E5EFA FF01531B
	v_mul_f32_e32 v31, v31, v48                                // 000000004338: 0A3E611F
	v_mov_b32_e32 v4, v31                                      // 00000000433C: 7E08031F
	v_mov_b32_e32 v5, v4                                       // 000000004340: 7E0A0304
	v_pk_mul_f32 v[40:41], v[4:5], v[40:41]                    // 000000004344: D3B14028 18025104
	v_pk_mul_f32 v[44:45], v[4:5], v[44:45]                    // 00000000434C: D3B1402C 18025904
	v_pk_mul_f32 v[42:43], v[4:5], v[42:43]                    // 000000004354: D3B1402A 18025504
	v_pk_mul_f32 v[46:47], v[4:5], v[46:47]                    // 00000000435C: D3B1402E 18025D04
	s_cmp_eq_u32 s88, 0                                        // 000000004364: BF068058
	s_cbranch_scc0 label_0739                                  // 000000004368: BF8400DB
	s_cmp_eq_u32 s89, 0                                        // 00000000436C: BF068059
	s_cbranch_scc1 label_068D                                  // 000000004370: BF85002D
	v_mov_b32_e32 v8, v1                                       // 000000004374: 7E100301
	v_mov_b32_e32 v9, v1                                       // 000000004378: 7E120301
	s_mov_b32 s60, s6                                          // 00000000437C: BEBC0006
	s_mov_b32 s61, s6                                          // 000000004380: BEBD0006
	v_pk_mul_f32 v[4:5], v[40:41], v[40:41]                    // 000000004384: D3B14004 18025128
	v_pk_mul_f32 v[6:7], v[42:43], v[42:43]                    // 00000000438C: D3B14006 1802552A
	v_pk_fma_f32 v[4:5], v[4:5], s[78:79], v[8:9]              // 000000004394: D3B04004 1C209D04
	v_pk_fma_f32 v[6:7], v[6:7], s[78:79], v[8:9]              // 00000000439C: D3B04006 1C209D06
	v_pk_mul_f32 v[4:5], v[4:5], v[40:41]                      // 0000000043A4: D3B14004 18025104
	v_pk_mul_f32 v[6:7], v[6:7], v[42:43]                      // 0000000043AC: D3B14006 18025506
	v_pk_mul_f32 v[4:5], v[4:5], s[60:61]                      // 0000000043B4: D3B14004 18007904
	v_pk_mul_f32 v[6:7], v[6:7], s[60:61]                      // 0000000043BC: D3B14006 18007906
	v_exp_f32_e32 v4, v4                                       // 0000000043C4: 7E084104
	v_exp_f32_e32 v5, v5                                       // 0000000043C8: 7E0A4105
	v_exp_f32_e32 v6, v6                                       // 0000000043CC: 7E0C4106
	v_exp_f32_e32 v7, v7                                       // 0000000043D0: 7E0E4107
	v_add_f32_e64 v4, v4, 1.0                                  // 0000000043D4: D1010004 0001E504
	v_add_f32_e64 v5, v5, 1.0                                  // 0000000043DC: D1010005 0001E505
	v_add_f32_e64 v6, v6, 1.0                                  // 0000000043E4: D1010006 0001E506
	v_add_f32_e64 v7, v7, 1.0                                  // 0000000043EC: D1010007 0001E507
	v_rcp_f32_e32 v4, v4                                       // 0000000043F4: 7E084504
	v_rcp_f32_e32 v5, v5                                       // 0000000043F8: 7E0A4505
	v_rcp_f32_e32 v6, v6                                       // 0000000043FC: 7E0C4506
	v_rcp_f32_e32 v7, v7                                       // 000000004400: 7E0E4507
	v_mul_f32_e32 v40, v40, v4                                 // 000000004404: 0A500928
	v_mul_f32_e32 v41, v41, v5                                 // 000000004408: 0A520B29
	v_mul_f32_e32 v42, v42, v6                                 // 00000000440C: 0A540D2A
	v_mul_f32_e32 v43, v43, v7                                 // 000000004410: 0A560F2B
	v_mul_f32_e32 v40, v40, v44                                // 000000004414: 0A505928
	v_mul_f32_e32 v41, v41, v45                                // 000000004418: 0A525B29
	v_mul_f32_e32 v42, v42, v46                                // 00000000441C: 0A545D2A
	v_mul_f32_e32 v43, v43, v47                                // 000000004420: 0A565F2B
	s_branch label_06AD                                        // 000000004424: BF820020

0000000000004428 <label_068D>:
	v_mul_f32_e64 v4, -v40, s6                                 // 000000004428: D1050004 20000D28
	v_mul_f32_e64 v5, -v41, s6                                 // 000000004430: D1050005 20000D29
	v_mul_f32_e64 v6, -v42, s6                                 // 000000004438: D1050006 20000D2A
	v_mul_f32_e64 v7, -v43, s6                                 // 000000004440: D1050007 20000D2B
	v_exp_f32_e32 v4, v4                                       // 000000004448: 7E084104
	v_exp_f32_e32 v5, v5                                       // 00000000444C: 7E0A4105
	v_exp_f32_e32 v6, v6                                       // 000000004450: 7E0C4106
	v_exp_f32_e32 v7, v7                                       // 000000004454: 7E0E4107
	v_add_f32_e64 v4, v4, 1.0                                  // 000000004458: D1010004 0001E504
	v_add_f32_e64 v5, v5, 1.0                                  // 000000004460: D1010005 0001E505
	v_add_f32_e64 v6, v6, 1.0                                  // 000000004468: D1010006 0001E506
	v_add_f32_e64 v7, v7, 1.0                                  // 000000004470: D1010007 0001E507
	v_rcp_f32_e32 v4, v4                                       // 000000004478: 7E084504
	v_rcp_f32_e32 v5, v5                                       // 00000000447C: 7E0A4505
	v_rcp_f32_e32 v6, v6                                       // 000000004480: 7E0C4506
	v_rcp_f32_e32 v7, v7                                       // 000000004484: 7E0E4507
	v_mul_f32_e32 v40, v40, v4                                 // 000000004488: 0A500928
	v_mul_f32_e32 v41, v41, v5                                 // 00000000448C: 0A520B29
	v_mul_f32_e32 v42, v42, v6                                 // 000000004490: 0A540D2A
	v_mul_f32_e32 v43, v43, v7                                 // 000000004494: 0A560F2B
	v_mul_f32_e32 v40, v40, v44                                // 000000004498: 0A505928
	v_mul_f32_e32 v41, v41, v45                                // 00000000449C: 0A525B29
	v_mul_f32_e32 v42, v42, v46                                // 0000000044A0: 0A545D2A
	v_mul_f32_e32 v43, v43, v47                                // 0000000044A4: 0A565F2B

00000000000044a8 <label_06AD>:
	v_cmp_u_f32_e64 s[46:47], v40, v40                         // 0000000044A8: D048002E 00025128
	v_add3_u32 v16, v40, v19, 1                                // 0000000044B0: D1FF0010 02062728
	v_cndmask_b32_e64 v4, v16, v18, s[46:47]                   // 0000000044B8: D1000004 00BA2510
	v_cmp_u_f32_e64 s[46:47], v41, v41                         // 0000000044C0: D048002E 00025329
	v_add3_u32 v16, v41, v19, 1                                // 0000000044C8: D1FF0010 02062729
	v_cndmask_b32_e64 v5, v16, v18, s[46:47]                   // 0000000044D0: D1000005 00BA2510
	v_perm_b32 v40, v5, v4, s52                                // 0000000044D8: D1ED0028 00D20905
	v_cmp_u_f32_e64 s[46:47], v42, v42                         // 0000000044E0: D048002E 0002552A
	v_add3_u32 v16, v42, v19, 1                                // 0000000044E8: D1FF0010 0206272A
	v_cndmask_b32_e64 v4, v16, v18, s[46:47]                   // 0000000044F0: D1000004 00BA2510
	v_cmp_u_f32_e64 s[46:47], v43, v43                         // 0000000044F8: D048002E 0002572B
	v_add3_u32 v16, v43, v19, 1                                // 000000004500: D1FF0010 0206272B
	v_cndmask_b32_e64 v5, v16, v18, s[46:47]                   // 000000004508: D1000005 00BA2510
	v_perm_b32 v41, v5, v4, s52                                // 000000004510: D1ED0029 00D20905
	ds_write_b64 v20, v[40:41]                                 // 000000004518: D89A0000 00002814
	v_lshrrev_b32_e32 v4, 5, v0                                // 000000004520: 20080085
	v_xor_b32_e32 v5, 1, v4                                    // 000000004524: 2A0A0881
	s_mul_i32 s60, s65, 2                                      // 000000004528: 923C8241
	s_cmp_eq_u32 s88, 0                                        // 00000000452C: BF068058
	s_cselect_b32 s61, 1, 4                                    // 000000004530: 853D8481
	s_mul_i32 s60, s61, s60                                    // 000000004534: 923C3C3D
	v_readlane_b32 s82, v3, 0                                  // 000000004538: D2890052 00010103
	s_lshr_b32 s61, s82, 24                                    // 000000004540: 8F3D9852
	s_and_b32 s82, s82, 0xffffff                               // 000000004544: 8652FF52 00FFFFFF
	s_mul_i32 s82, s82, s71                                    // 00000000454C: 92524752
	s_mul_i32 s61, s60, s61                                    // 000000004550: 923D3D3C
	s_add_u32 s82, s82, s61                                    // 000000004554: 80523D52
	v_mul_lo_u32 v6, v5, s82                                   // 000000004558: D2850006 0000A505
	v_readlane_b32 s82, v3, 1                                  // 000000004560: D2890052 00010303
	s_lshr_b32 s61, s82, 24                                    // 000000004568: 8F3D9852
	s_and_b32 s82, s82, 0xffffff                               // 00000000456C: 8652FF52 00FFFFFF
	s_mul_i32 s82, s82, s71                                    // 000000004574: 92524752
	s_mul_i32 s61, s60, s61                                    // 000000004578: 923D3D3C
	s_add_u32 s82, s82, s61                                    // 00000000457C: 80523D52
	v_mul_lo_u32 v7, v4, s82                                   // 000000004580: D2850007 0000A504
	v_add_u32_e32 v34, v6, v7                                  // 000000004588: 68440F06
	v_readlane_b32 s82, v3, 2                                  // 00000000458C: D2890052 00010503
	s_lshr_b32 s61, s82, 24                                    // 000000004594: 8F3D9852
	s_and_b32 s82, s82, 0xffffff                               // 000000004598: 8652FF52 00FFFFFF
	s_mul_i32 s82, s82, s71                                    // 0000000045A0: 92524752
	s_mul_i32 s61, s60, s61                                    // 0000000045A4: 923D3D3C
	s_add_u32 s82, s82, s61                                    // 0000000045A8: 80523D52
	v_mul_lo_u32 v6, v5, s82                                   // 0000000045AC: D2850006 0000A505
	v_readlane_b32 s82, v3, 3                                  // 0000000045B4: D2890052 00010703
	s_lshr_b32 s61, s82, 24                                    // 0000000045BC: 8F3D9852
	s_and_b32 s82, s82, 0xffffff                               // 0000000045C0: 8652FF52 00FFFFFF
	s_mul_i32 s82, s82, s71                                    // 0000000045C8: 92524752
	s_mul_i32 s61, s60, s61                                    // 0000000045CC: 923D3D3C
	s_add_u32 s82, s82, s61                                    // 0000000045D0: 80523D52
	v_mul_lo_u32 v7, v4, s82                                   // 0000000045D4: D2850007 0000A504
	v_add_u32_e32 v35, v6, v7                                  // 0000000045DC: 68460F06
	v_and_b32_e32 v4, 31, v0                                   // 0000000045E0: 2608009F
	v_lshrrev_b32_e32 v4, 1, v4                                // 0000000045E4: 20080881
	s_cmp_eq_u32 s88, 0                                        // 0000000045E8: BF068058
	s_cselect_b32 s61, 2, 4                                    // 0000000045EC: 853D8482
	v_mul_lo_u32 v4, v4, s61                                   // 0000000045F0: D2850004 00007B04
	v_and_b32_e64 v5, v0, 1                                    // 0000000045F8: D1130005 00010300
	v_add_u32_e32 v4, v4, v5                                   // 000000004600: 68080B04
	v_lshlrev_b32_e32 v4, 2, v4                                // 000000004604: 24080882
	v_add_u32_e32 v34, v34, v4                                 // 000000004608: 68440922
	v_add_u32_e32 v35, v35, v4                                 // 00000000460C: 68460923
	s_waitcnt lgkmcnt(0)                                       // 000000004610: BF8CC07F
	s_barrier                                                  // 000000004614: BF8A0000
	ds_read_b32 v40, v21                                       // 000000004618: D86C0000 28000015
	ds_read_b32 v41, v21 offset:64                             // 000000004620: D86C0040 29000015
	s_waitcnt lgkmcnt(0)                                       // 000000004628: BF8CC07F
	s_mov_b32 s36, -1                                          // 00000000462C: BEA400C1
	s_mov_b32 s37, -1                                          // 000000004630: BEA500C1
	v_mov_b32_e32 v7, 0                                        // 000000004634: 7E0E0280
	s_or_b32 s9, s9, 0x40000                                   // 000000004638: 8709FF09 00040000
	s_mov_b64 exec, s[36:37]                                   // 000000004640: BEFE0124
	v_mov_b32_e32 v6, v34                                      // 000000004644: 7E0C0322
	s_mov_b64 s[60:61], 0                                      // 000000004648: BEBC0180
	v_readlane_b32 s82, v3, 0                                  // 00000000464C: D2890052 00010103
	s_and_b32 s82, s82, 0xffffff                               // 000000004654: 8652FF52 00FFFFFF
	s_cmp_lt_u32 s82, s66                                      // 00000000465C: BF0A4252
	s_cselect_b32 s20, s36, s60                                // 000000004660: 85143C24
	v_readlane_b32 s82, v3, 1                                  // 000000004664: D2890052 00010303
	s_and_b32 s82, s82, 0xffffff                               // 00000000466C: 8652FF52 00FFFFFF
	s_cmp_lt_u32 s82, s66                                      // 000000004674: BF0A4252
	s_cselect_b32 s21, s36, s60                                // 000000004678: 85153C24
	s_mov_b64 exec, s[20:21]                                   // 00000000467C: BEFE0114
	buffer_store_dword v40, v6, s[8:11], 0 offen               // 000000004680: E0701000 80022806
	s_mov_b64 exec, s[36:37]                                   // 000000004688: BEFE0124
	v_mov_b32_e32 v6, v35                                      // 00000000468C: 7E0C0323
	s_mov_b64 s[60:61], 0                                      // 000000004690: BEBC0180
	v_readlane_b32 s82, v3, 2                                  // 000000004694: D2890052 00010503
	s_and_b32 s82, s82, 0xffffff                               // 00000000469C: 8652FF52 00FFFFFF
	s_cmp_lt_u32 s82, s66                                      // 0000000046A4: BF0A4252
	s_cselect_b32 s20, s36, s60                                // 0000000046A8: 85143C24
	v_readlane_b32 s82, v3, 3                                  // 0000000046AC: D2890052 00010703
	s_and_b32 s82, s82, 0xffffff                               // 0000000046B4: 8652FF52 00FFFFFF
	s_cmp_lt_u32 s82, s66                                      // 0000000046BC: BF0A4252
	s_cselect_b32 s21, s36, s60                                // 0000000046C0: 85153C24
	s_mov_b64 exec, s[20:21]                                   // 0000000046C4: BEFE0114
	buffer_store_dword v41, v6, s[8:11], 0 offen               // 0000000046C8: E0701000 80022906
	s_mov_b64 exec, s[36:37]                                   // 0000000046D0: BEFE0124
	s_branch label_0837                                        // 0000000046D4: BF8200FE

00000000000046d8 <label_0739>:
	ds_write_b64 v20, v[40:41]                                 // 0000000046D8: D89A0000 00002814
	v_lshrrev_b32_e32 v4, 5, v0                                // 0000000046E0: 20080085
	v_xor_b32_e32 v5, 1, v4                                    // 0000000046E4: 2A0A0881
	s_mul_i32 s60, s65, 2                                      // 0000000046E8: 923C8241
	s_cmp_eq_u32 s88, 0                                        // 0000000046EC: BF068058
	s_cselect_b32 s61, 1, 4                                    // 0000000046F0: 853D8481
	s_mul_i32 s60, s61, s60                                    // 0000000046F4: 923C3C3D
	v_readlane_b32 s82, v3, 0                                  // 0000000046F8: D2890052 00010103
	s_lshr_b32 s61, s82, 24                                    // 000000004700: 8F3D9852
	s_and_b32 s82, s82, 0xffffff                               // 000000004704: 8652FF52 00FFFFFF
	s_mul_i32 s82, s82, s71                                    // 00000000470C: 92524752
	s_mul_i32 s61, s60, s61                                    // 000000004710: 923D3D3C
	s_add_u32 s82, s82, s61                                    // 000000004714: 80523D52
	v_mul_lo_u32 v6, v5, s82                                   // 000000004718: D2850006 0000A505
	v_readlane_b32 s82, v3, 1                                  // 000000004720: D2890052 00010303
	s_lshr_b32 s61, s82, 24                                    // 000000004728: 8F3D9852
	s_and_b32 s82, s82, 0xffffff                               // 00000000472C: 8652FF52 00FFFFFF
	s_mul_i32 s82, s82, s71                                    // 000000004734: 92524752
	s_mul_i32 s61, s60, s61                                    // 000000004738: 923D3D3C
	s_add_u32 s82, s82, s61                                    // 00000000473C: 80523D52
	v_mul_lo_u32 v7, v4, s82                                   // 000000004740: D2850007 0000A504
	v_add_u32_e32 v34, v6, v7                                  // 000000004748: 68440F06
	v_readlane_b32 s82, v3, 2                                  // 00000000474C: D2890052 00010503
	s_lshr_b32 s61, s82, 24                                    // 000000004754: 8F3D9852
	s_and_b32 s82, s82, 0xffffff                               // 000000004758: 8652FF52 00FFFFFF
	s_mul_i32 s82, s82, s71                                    // 000000004760: 92524752
	s_mul_i32 s61, s60, s61                                    // 000000004764: 923D3D3C
	s_add_u32 s82, s82, s61                                    // 000000004768: 80523D52
	v_mul_lo_u32 v6, v5, s82                                   // 00000000476C: D2850006 0000A505
	v_readlane_b32 s82, v3, 3                                  // 000000004774: D2890052 00010703
	s_lshr_b32 s61, s82, 24                                    // 00000000477C: 8F3D9852
	s_and_b32 s82, s82, 0xffffff                               // 000000004780: 8652FF52 00FFFFFF
	s_mul_i32 s82, s82, s71                                    // 000000004788: 92524752
	s_mul_i32 s61, s60, s61                                    // 00000000478C: 923D3D3C
	s_add_u32 s82, s82, s61                                    // 000000004790: 80523D52
	v_mul_lo_u32 v7, v4, s82                                   // 000000004794: D2850007 0000A504
	v_add_u32_e32 v35, v6, v7                                  // 00000000479C: 68460F06
	v_and_b32_e32 v4, 31, v0                                   // 0000000047A0: 2608009F
	v_lshrrev_b32_e32 v4, 1, v4                                // 0000000047A4: 20080881
	s_cmp_eq_u32 s88, 0                                        // 0000000047A8: BF068058
	s_cselect_b32 s61, 2, 4                                    // 0000000047AC: 853D8482
	v_mul_lo_u32 v4, v4, s61                                   // 0000000047B0: D2850004 00007B04
	v_and_b32_e64 v5, v0, 1                                    // 0000000047B8: D1130005 00010300
	v_add_u32_e32 v4, v4, v5                                   // 0000000047C0: 68080B04
	v_lshlrev_b32_e32 v4, 2, v4                                // 0000000047C4: 24080882
	v_add_u32_e32 v34, v34, v4                                 // 0000000047C8: 68440922
	v_add_u32_e32 v35, v35, v4                                 // 0000000047CC: 68460923
	s_waitcnt lgkmcnt(0)                                       // 0000000047D0: BF8CC07F
	s_barrier                                                  // 0000000047D4: BF8A0000
	ds_read_b32 v40, v21                                       // 0000000047D8: D86C0000 28000015
	ds_read_b32 v41, v21 offset:64                             // 0000000047E0: D86C0040 29000015
	s_waitcnt lgkmcnt(0)                                       // 0000000047E8: BF8CC07F
	s_mov_b32 s36, -1                                          // 0000000047EC: BEA400C1
	s_mov_b32 s37, -1                                          // 0000000047F0: BEA500C1
	v_mov_b32_e32 v7, 0                                        // 0000000047F4: 7E0E0280
	s_mov_b64 exec, s[36:37]                                   // 0000000047F8: BEFE0124
	v_mov_b32_e32 v6, v34                                      // 0000000047FC: 7E0C0322
	s_mov_b64 s[60:61], 0                                      // 000000004800: BEBC0180
	v_readlane_b32 s82, v3, 0                                  // 000000004804: D2890052 00010103
	s_and_b32 s82, s82, 0xffffff                               // 00000000480C: 8652FF52 00FFFFFF
	s_cmp_lt_u32 s82, s66                                      // 000000004814: BF0A4252
	s_cselect_b32 s20, s36, s60                                // 000000004818: 85143C24
	v_readlane_b32 s82, v3, 1                                  // 00000000481C: D2890052 00010303
	s_and_b32 s82, s82, 0xffffff                               // 000000004824: 8652FF52 00FFFFFF
	s_cmp_lt_u32 s82, s66                                      // 00000000482C: BF0A4252
	s_cselect_b32 s21, s36, s60                                // 000000004830: 85153C24
	s_mov_b64 exec, s[20:21]                                   // 000000004834: BEFE0114
	global_atomic_add_f32 v6, v40, s[8:9]                      // 000000004838: DD348000 00082806
	s_mov_b64 exec, s[36:37]                                   // 000000004840: BEFE0124
	v_mov_b32_e32 v6, v35                                      // 000000004844: 7E0C0323
	s_mov_b64 s[60:61], 0                                      // 000000004848: BEBC0180
	v_readlane_b32 s82, v3, 2                                  // 00000000484C: D2890052 00010503
	s_and_b32 s82, s82, 0xffffff                               // 000000004854: 8652FF52 00FFFFFF
	s_cmp_lt_u32 s82, s66                                      // 00000000485C: BF0A4252
	s_cselect_b32 s20, s36, s60                                // 000000004860: 85143C24
	v_readlane_b32 s82, v3, 3                                  // 000000004864: D2890052 00010703
	s_and_b32 s82, s82, 0xffffff                               // 00000000486C: 8652FF52 00FFFFFF
	s_cmp_lt_u32 s82, s66                                      // 000000004874: BF0A4252
	s_cselect_b32 s21, s36, s60                                // 000000004878: 85153C24
	s_mov_b64 exec, s[20:21]                                   // 00000000487C: BEFE0114
	global_atomic_add_f32 v6, v41, s[8:9]                      // 000000004880: DD348000 00082906
	s_mov_b64 exec, s[36:37]                                   // 000000004888: BEFE0124
	ds_write_b64 v20, v[42:43]                                 // 00000000488C: D89A0000 00002A14
	s_waitcnt lgkmcnt(0)                                       // 000000004894: BF8CC07F
	s_barrier                                                  // 000000004898: BF8A0000
	ds_read_b32 v42, v21                                       // 00000000489C: D86C0000 2A000015
	ds_read_b32 v43, v21 offset:64                             // 0000000048A4: D86C0040 2B000015
	s_waitcnt lgkmcnt(0)                                       // 0000000048AC: BF8CC07F
	v_mov_b32_e32 v7, 0                                        // 0000000048B0: 7E0E0280
	s_mov_b64 exec, s[36:37]                                   // 0000000048B4: BEFE0124
	v_mov_b32_e32 v6, v34                                      // 0000000048B8: 7E0C0322
	s_mov_b64 s[60:61], 0                                      // 0000000048BC: BEBC0180
	v_readlane_b32 s82, v3, 0                                  // 0000000048C0: D2890052 00010103
	s_and_b32 s82, s82, 0xffffff                               // 0000000048C8: 8652FF52 00FFFFFF
	s_cmp_lt_u32 s82, s66                                      // 0000000048D0: BF0A4252
	s_cselect_b32 s20, s36, s60                                // 0000000048D4: 85143C24
	v_readlane_b32 s82, v3, 1                                  // 0000000048D8: D2890052 00010303
	s_and_b32 s82, s82, 0xffffff                               // 0000000048E0: 8652FF52 00FFFFFF
	s_cmp_lt_u32 s82, s66                                      // 0000000048E8: BF0A4252
	s_cselect_b32 s21, s36, s60                                // 0000000048EC: 85153C24
	s_mov_b64 exec, s[20:21]                                   // 0000000048F0: BEFE0114
	global_atomic_add_f32 v6, v42, s[8:9] offset:8             // 0000000048F4: DD348008 00082A06
	s_mov_b64 exec, s[36:37]                                   // 0000000048FC: BEFE0124
	v_mov_b32_e32 v6, v35                                      // 000000004900: 7E0C0323
	s_mov_b64 s[60:61], 0                                      // 000000004904: BEBC0180
	v_readlane_b32 s82, v3, 2                                  // 000000004908: D2890052 00010503
	s_and_b32 s82, s82, 0xffffff                               // 000000004910: 8652FF52 00FFFFFF
	s_cmp_lt_u32 s82, s66                                      // 000000004918: BF0A4252
	s_cselect_b32 s20, s36, s60                                // 00000000491C: 85143C24
	v_readlane_b32 s82, v3, 3                                  // 000000004920: D2890052 00010703
	s_and_b32 s82, s82, 0xffffff                               // 000000004928: 8652FF52 00FFFFFF
	s_cmp_lt_u32 s82, s66                                      // 000000004930: BF0A4252
	s_cselect_b32 s21, s36, s60                                // 000000004934: 85153C24
	s_mov_b64 exec, s[20:21]                                   // 000000004938: BEFE0114
	global_atomic_add_f32 v6, v43, s[8:9] offset:8             // 00000000493C: DD348008 00082B06
	s_mov_b64 exec, s[36:37]                                   // 000000004944: BEFE0124
	ds_write_b64 v20, v[44:45]                                 // 000000004948: D89A0000 00002C14
	s_waitcnt lgkmcnt(0)                                       // 000000004950: BF8CC07F
	s_barrier                                                  // 000000004954: BF8A0000
	ds_read_b32 v44, v21                                       // 000000004958: D86C0000 2C000015
	ds_read_b32 v45, v21 offset:64                             // 000000004960: D86C0040 2D000015
	s_mul_i32 s60, s65, 4                                      // 000000004968: 923C8441
	s_add_u32 s8, s60, s8                                      // 00000000496C: 8008083C
	s_addc_u32 s9, 0, s9                                       // 000000004970: 82090980
	s_waitcnt lgkmcnt(0)                                       // 000000004974: BF8CC07F
	v_mov_b32_e32 v7, 0                                        // 000000004978: 7E0E0280
	s_mov_b64 exec, s[36:37]                                   // 00000000497C: BEFE0124
	v_mov_b32_e32 v6, v34                                      // 000000004980: 7E0C0322
	s_mov_b64 s[60:61], 0                                      // 000000004984: BEBC0180
	v_readlane_b32 s82, v3, 0                                  // 000000004988: D2890052 00010103
	s_and_b32 s82, s82, 0xffffff                               // 000000004990: 8652FF52 00FFFFFF
	s_cmp_lt_u32 s82, s66                                      // 000000004998: BF0A4252
	s_cselect_b32 s20, s36, s60                                // 00000000499C: 85143C24
	v_readlane_b32 s82, v3, 1                                  // 0000000049A0: D2890052 00010303
	s_and_b32 s82, s82, 0xffffff                               // 0000000049A8: 8652FF52 00FFFFFF
	s_cmp_lt_u32 s82, s66                                      // 0000000049B0: BF0A4252
	s_cselect_b32 s21, s36, s60                                // 0000000049B4: 85153C24
	s_mov_b64 exec, s[20:21]                                   // 0000000049B8: BEFE0114
	global_atomic_add_f32 v6, v44, s[8:9]                      // 0000000049BC: DD348000 00082C06
	s_mov_b64 exec, s[36:37]                                   // 0000000049C4: BEFE0124
	v_mov_b32_e32 v6, v35                                      // 0000000049C8: 7E0C0323
	s_mov_b64 s[60:61], 0                                      // 0000000049CC: BEBC0180
	v_readlane_b32 s82, v3, 2                                  // 0000000049D0: D2890052 00010503
	s_and_b32 s82, s82, 0xffffff                               // 0000000049D8: 8652FF52 00FFFFFF
	s_cmp_lt_u32 s82, s66                                      // 0000000049E0: BF0A4252
	s_cselect_b32 s20, s36, s60                                // 0000000049E4: 85143C24
	v_readlane_b32 s82, v3, 3                                  // 0000000049E8: D2890052 00010703
	s_and_b32 s82, s82, 0xffffff                               // 0000000049F0: 8652FF52 00FFFFFF
	s_cmp_lt_u32 s82, s66                                      // 0000000049F8: BF0A4252
	s_cselect_b32 s21, s36, s60                                // 0000000049FC: 85153C24
	s_mov_b64 exec, s[20:21]                                   // 000000004A00: BEFE0114
	global_atomic_add_f32 v6, v45, s[8:9]                      // 000000004A04: DD348000 00082D06
	s_mov_b64 exec, s[36:37]                                   // 000000004A0C: BEFE0124
	ds_write_b64 v20, v[46:47]                                 // 000000004A10: D89A0000 00002E14
	s_waitcnt lgkmcnt(0)                                       // 000000004A18: BF8CC07F
	s_barrier                                                  // 000000004A1C: BF8A0000
	ds_read_b32 v46, v21                                       // 000000004A20: D86C0000 2E000015
	ds_read_b32 v47, v21 offset:64                             // 000000004A28: D86C0040 2F000015
	s_waitcnt lgkmcnt(0)                                       // 000000004A30: BF8CC07F
	v_mov_b32_e32 v7, 0                                        // 000000004A34: 7E0E0280
	s_mov_b64 exec, s[36:37]                                   // 000000004A38: BEFE0124
	v_mov_b32_e32 v6, v34                                      // 000000004A3C: 7E0C0322
	s_mov_b64 s[60:61], 0                                      // 000000004A40: BEBC0180
	v_readlane_b32 s82, v3, 0                                  // 000000004A44: D2890052 00010103
	s_and_b32 s82, s82, 0xffffff                               // 000000004A4C: 8652FF52 00FFFFFF
	s_cmp_lt_u32 s82, s66                                      // 000000004A54: BF0A4252
	s_cselect_b32 s20, s36, s60                                // 000000004A58: 85143C24
	v_readlane_b32 s82, v3, 1                                  // 000000004A5C: D2890052 00010303
	s_and_b32 s82, s82, 0xffffff                               // 000000004A64: 8652FF52 00FFFFFF
	s_cmp_lt_u32 s82, s66                                      // 000000004A6C: BF0A4252
	s_cselect_b32 s21, s36, s60                                // 000000004A70: 85153C24
	s_mov_b64 exec, s[20:21]                                   // 000000004A74: BEFE0114
	global_atomic_add_f32 v6, v46, s[8:9] offset:8             // 000000004A78: DD348008 00082E06
	s_mov_b64 exec, s[36:37]                                   // 000000004A80: BEFE0124
	v_mov_b32_e32 v6, v35                                      // 000000004A84: 7E0C0323
	s_mov_b64 s[60:61], 0                                      // 000000004A88: BEBC0180
	v_readlane_b32 s82, v3, 2                                  // 000000004A8C: D2890052 00010503
	s_and_b32 s82, s82, 0xffffff                               // 000000004A94: 8652FF52 00FFFFFF
	s_cmp_lt_u32 s82, s66                                      // 000000004A9C: BF0A4252
	s_cselect_b32 s20, s36, s60                                // 000000004AA0: 85143C24
	v_readlane_b32 s82, v3, 3                                  // 000000004AA4: D2890052 00010703
	s_and_b32 s82, s82, 0xffffff                               // 000000004AAC: 8652FF52 00FFFFFF
	s_cmp_lt_u32 s82, s66                                      // 000000004AB4: BF0A4252
	s_cselect_b32 s21, s36, s60                                // 000000004AB8: 85153C24
	s_mov_b64 exec, s[20:21]                                   // 000000004ABC: BEFE0114
	global_atomic_add_f32 v6, v47, s[8:9] offset:8             // 000000004AC0: DD348008 00082F06
	s_mov_b64 exec, s[36:37]                                   // 000000004AC8: BEFE0124
	s_branch label_0837                                        // 000000004ACC: BF820000

0000000000004ad0 <label_0837>:
	s_waitcnt vmcnt(0) expcnt(0) lgkmcnt(0)                    // 000000004AD0: BF8C0000
	s_endpgm                                                   // 000000004AD4: BF810000
